;; amdgpu-corpus repo=ROCm/rocFFT kind=compiled arch=gfx1201 opt=O3
	.text
	.amdgcn_target "amdgcn-amd-amdhsa--gfx1201"
	.amdhsa_code_object_version 6
	.protected	fft_rtc_fwd_len561_factors_17_3_11_wgs_255_tpt_51_halfLds_half_op_CI_CI_sbrr_dirReg ; -- Begin function fft_rtc_fwd_len561_factors_17_3_11_wgs_255_tpt_51_halfLds_half_op_CI_CI_sbrr_dirReg
	.globl	fft_rtc_fwd_len561_factors_17_3_11_wgs_255_tpt_51_halfLds_half_op_CI_CI_sbrr_dirReg
	.p2align	8
	.type	fft_rtc_fwd_len561_factors_17_3_11_wgs_255_tpt_51_halfLds_half_op_CI_CI_sbrr_dirReg,@function
fft_rtc_fwd_len561_factors_17_3_11_wgs_255_tpt_51_halfLds_half_op_CI_CI_sbrr_dirReg: ; @fft_rtc_fwd_len561_factors_17_3_11_wgs_255_tpt_51_halfLds_half_op_CI_CI_sbrr_dirReg
; %bb.0:
	s_clause 0x1
	s_load_b128 s[12:15], s[0:1], 0x18
	s_load_b128 s[8:11], s[0:1], 0x0
	v_mul_u32_u24_e32 v1, 0x506, v0
	v_mov_b32_e32 v5, 0
	v_mov_b32_e32 v3, 0
	v_mov_b32_e32 v4, 0
	s_load_b128 s[4:7], s[0:1], 0x58
	s_wait_kmcnt 0x0
	s_load_b64 s[18:19], s[12:13], 0x0
	s_load_b64 s[16:17], s[14:15], 0x0
	v_lshrrev_b32_e32 v1, 16, v1
	v_cmp_lt_u64_e64 s2, s[10:11], 2
	v_dual_mov_b32 v9, v4 :: v_dual_mov_b32 v8, v3
	s_delay_alu instid0(VALU_DEP_3) | instskip(SKIP_1) | instid1(VALU_DEP_4)
	v_mad_co_u64_u32 v[1:2], null, ttmp9, 5, v[1:2]
	v_mov_b32_e32 v2, v5
	s_and_b32 vcc_lo, exec_lo, s2
	s_delay_alu instid0(VALU_DEP_1)
	v_dual_mov_b32 v11, v2 :: v_dual_mov_b32 v10, v1
	s_cbranch_vccnz .LBB0_8
; %bb.1:
	s_load_b64 s[2:3], s[0:1], 0x10
	v_mov_b32_e32 v3, 0
	v_dual_mov_b32 v4, 0 :: v_dual_mov_b32 v13, v2
	v_mov_b32_e32 v12, v1
	s_add_nc_u64 s[20:21], s[14:15], 8
	s_add_nc_u64 s[22:23], s[12:13], 8
	s_delay_alu instid0(VALU_DEP_2)
	v_dual_mov_b32 v9, v4 :: v_dual_mov_b32 v8, v3
	s_mov_b64 s[24:25], 1
	s_wait_kmcnt 0x0
	s_add_nc_u64 s[26:27], s[2:3], 8
	s_mov_b32 s3, 0
.LBB0_2:                                ; =>This Inner Loop Header: Depth=1
	s_load_b64 s[28:29], s[26:27], 0x0
                                        ; implicit-def: $vgpr10_vgpr11
	s_mov_b32 s2, exec_lo
	s_wait_kmcnt 0x0
	v_or_b32_e32 v6, s29, v13
	s_delay_alu instid0(VALU_DEP_1)
	v_cmpx_ne_u64_e32 0, v[5:6]
	s_wait_alu 0xfffe
	s_xor_b32 s30, exec_lo, s2
	s_cbranch_execz .LBB0_4
; %bb.3:                                ;   in Loop: Header=BB0_2 Depth=1
	s_cvt_f32_u32 s2, s28
	s_cvt_f32_u32 s31, s29
	s_sub_nc_u64 s[36:37], 0, s[28:29]
	s_wait_alu 0xfffe
	s_delay_alu instid0(SALU_CYCLE_1) | instskip(SKIP_1) | instid1(SALU_CYCLE_2)
	s_fmamk_f32 s2, s31, 0x4f800000, s2
	s_wait_alu 0xfffe
	v_s_rcp_f32 s2, s2
	s_delay_alu instid0(TRANS32_DEP_1) | instskip(SKIP_1) | instid1(SALU_CYCLE_2)
	s_mul_f32 s2, s2, 0x5f7ffffc
	s_wait_alu 0xfffe
	s_mul_f32 s31, s2, 0x2f800000
	s_wait_alu 0xfffe
	s_delay_alu instid0(SALU_CYCLE_2) | instskip(SKIP_1) | instid1(SALU_CYCLE_2)
	s_trunc_f32 s31, s31
	s_wait_alu 0xfffe
	s_fmamk_f32 s2, s31, 0xcf800000, s2
	s_cvt_u32_f32 s35, s31
	s_wait_alu 0xfffe
	s_delay_alu instid0(SALU_CYCLE_1) | instskip(SKIP_1) | instid1(SALU_CYCLE_2)
	s_cvt_u32_f32 s34, s2
	s_wait_alu 0xfffe
	s_mul_u64 s[38:39], s[36:37], s[34:35]
	s_wait_alu 0xfffe
	s_mul_hi_u32 s41, s34, s39
	s_mul_i32 s40, s34, s39
	s_mul_hi_u32 s2, s34, s38
	s_mul_i32 s33, s35, s38
	s_wait_alu 0xfffe
	s_add_nc_u64 s[40:41], s[2:3], s[40:41]
	s_mul_hi_u32 s31, s35, s38
	s_mul_hi_u32 s42, s35, s39
	s_add_co_u32 s2, s40, s33
	s_wait_alu 0xfffe
	s_add_co_ci_u32 s2, s41, s31
	s_mul_i32 s38, s35, s39
	s_add_co_ci_u32 s39, s42, 0
	s_wait_alu 0xfffe
	s_add_nc_u64 s[38:39], s[2:3], s[38:39]
	s_wait_alu 0xfffe
	v_add_co_u32 v2, s2, s34, s38
	s_delay_alu instid0(VALU_DEP_1) | instskip(SKIP_1) | instid1(VALU_DEP_1)
	s_cmp_lg_u32 s2, 0
	s_add_co_ci_u32 s35, s35, s39
	v_readfirstlane_b32 s34, v2
	s_wait_alu 0xfffe
	s_delay_alu instid0(VALU_DEP_1)
	s_mul_u64 s[36:37], s[36:37], s[34:35]
	s_wait_alu 0xfffe
	s_mul_hi_u32 s39, s34, s37
	s_mul_i32 s38, s34, s37
	s_mul_hi_u32 s2, s34, s36
	s_mul_i32 s33, s35, s36
	s_wait_alu 0xfffe
	s_add_nc_u64 s[38:39], s[2:3], s[38:39]
	s_mul_hi_u32 s31, s35, s36
	s_mul_hi_u32 s34, s35, s37
	s_wait_alu 0xfffe
	s_add_co_u32 s2, s38, s33
	s_add_co_ci_u32 s2, s39, s31
	s_mul_i32 s36, s35, s37
	s_add_co_ci_u32 s37, s34, 0
	s_wait_alu 0xfffe
	s_add_nc_u64 s[36:37], s[2:3], s[36:37]
	s_wait_alu 0xfffe
	v_add_co_u32 v2, s2, v2, s36
	s_delay_alu instid0(VALU_DEP_1) | instskip(SKIP_1) | instid1(VALU_DEP_1)
	s_cmp_lg_u32 s2, 0
	s_add_co_ci_u32 s2, s35, s37
	v_mul_hi_u32 v16, v12, v2
	s_wait_alu 0xfffe
	v_mad_co_u64_u32 v[6:7], null, v12, s2, 0
	v_mad_co_u64_u32 v[10:11], null, v13, v2, 0
	;; [unrolled: 1-line block ×3, first 2 shown]
	s_delay_alu instid0(VALU_DEP_3) | instskip(SKIP_1) | instid1(VALU_DEP_4)
	v_add_co_u32 v2, vcc_lo, v16, v6
	s_wait_alu 0xfffd
	v_add_co_ci_u32_e32 v6, vcc_lo, 0, v7, vcc_lo
	s_delay_alu instid0(VALU_DEP_2) | instskip(SKIP_1) | instid1(VALU_DEP_2)
	v_add_co_u32 v2, vcc_lo, v2, v10
	s_wait_alu 0xfffd
	v_add_co_ci_u32_e32 v2, vcc_lo, v6, v11, vcc_lo
	s_wait_alu 0xfffd
	v_add_co_ci_u32_e32 v6, vcc_lo, 0, v15, vcc_lo
	s_delay_alu instid0(VALU_DEP_2) | instskip(SKIP_1) | instid1(VALU_DEP_2)
	v_add_co_u32 v2, vcc_lo, v2, v14
	s_wait_alu 0xfffd
	v_add_co_ci_u32_e32 v10, vcc_lo, 0, v6, vcc_lo
	s_delay_alu instid0(VALU_DEP_2) | instskip(SKIP_1) | instid1(VALU_DEP_3)
	v_mul_lo_u32 v11, s29, v2
	v_mad_co_u64_u32 v[6:7], null, s28, v2, 0
	v_mul_lo_u32 v14, s28, v10
	s_delay_alu instid0(VALU_DEP_2) | instskip(NEXT) | instid1(VALU_DEP_2)
	v_sub_co_u32 v6, vcc_lo, v12, v6
	v_add3_u32 v7, v7, v14, v11
	s_delay_alu instid0(VALU_DEP_1) | instskip(SKIP_1) | instid1(VALU_DEP_1)
	v_sub_nc_u32_e32 v11, v13, v7
	s_wait_alu 0xfffd
	v_subrev_co_ci_u32_e64 v11, s2, s29, v11, vcc_lo
	v_add_co_u32 v14, s2, v2, 2
	s_wait_alu 0xf1ff
	v_add_co_ci_u32_e64 v15, s2, 0, v10, s2
	v_sub_co_u32 v16, s2, v6, s28
	v_sub_co_ci_u32_e32 v7, vcc_lo, v13, v7, vcc_lo
	s_wait_alu 0xf1ff
	v_subrev_co_ci_u32_e64 v11, s2, 0, v11, s2
	s_delay_alu instid0(VALU_DEP_3) | instskip(NEXT) | instid1(VALU_DEP_3)
	v_cmp_le_u32_e32 vcc_lo, s28, v16
	v_cmp_eq_u32_e64 s2, s29, v7
	s_wait_alu 0xfffd
	v_cndmask_b32_e64 v16, 0, -1, vcc_lo
	v_cmp_le_u32_e32 vcc_lo, s29, v11
	s_wait_alu 0xfffd
	v_cndmask_b32_e64 v17, 0, -1, vcc_lo
	v_cmp_le_u32_e32 vcc_lo, s28, v6
	;; [unrolled: 3-line block ×3, first 2 shown]
	s_wait_alu 0xfffd
	v_cndmask_b32_e64 v18, 0, -1, vcc_lo
	v_cmp_eq_u32_e32 vcc_lo, s29, v11
	s_wait_alu 0xf1ff
	s_delay_alu instid0(VALU_DEP_2)
	v_cndmask_b32_e64 v6, v18, v6, s2
	s_wait_alu 0xfffd
	v_cndmask_b32_e32 v11, v17, v16, vcc_lo
	v_add_co_u32 v16, vcc_lo, v2, 1
	s_wait_alu 0xfffd
	v_add_co_ci_u32_e32 v17, vcc_lo, 0, v10, vcc_lo
	s_delay_alu instid0(VALU_DEP_3) | instskip(SKIP_1) | instid1(VALU_DEP_2)
	v_cmp_ne_u32_e32 vcc_lo, 0, v11
	s_wait_alu 0xfffd
	v_dual_cndmask_b32 v14, v16, v14 :: v_dual_cndmask_b32 v7, v17, v15
	v_cmp_ne_u32_e32 vcc_lo, 0, v6
	s_wait_alu 0xfffd
	s_delay_alu instid0(VALU_DEP_2) | instskip(NEXT) | instid1(VALU_DEP_3)
	v_cndmask_b32_e32 v11, v10, v7, vcc_lo
	v_cndmask_b32_e32 v10, v2, v14, vcc_lo
.LBB0_4:                                ;   in Loop: Header=BB0_2 Depth=1
	s_wait_alu 0xfffe
	s_and_not1_saveexec_b32 s2, s30
	s_cbranch_execz .LBB0_6
; %bb.5:                                ;   in Loop: Header=BB0_2 Depth=1
	v_cvt_f32_u32_e32 v2, s28
	s_sub_co_i32 s30, 0, s28
	v_mov_b32_e32 v11, v5
	s_delay_alu instid0(VALU_DEP_2) | instskip(NEXT) | instid1(TRANS32_DEP_1)
	v_rcp_iflag_f32_e32 v2, v2
	v_mul_f32_e32 v2, 0x4f7ffffe, v2
	s_delay_alu instid0(VALU_DEP_1) | instskip(SKIP_1) | instid1(VALU_DEP_1)
	v_cvt_u32_f32_e32 v2, v2
	s_wait_alu 0xfffe
	v_mul_lo_u32 v6, s30, v2
	s_delay_alu instid0(VALU_DEP_1) | instskip(NEXT) | instid1(VALU_DEP_1)
	v_mul_hi_u32 v6, v2, v6
	v_add_nc_u32_e32 v2, v2, v6
	s_delay_alu instid0(VALU_DEP_1) | instskip(NEXT) | instid1(VALU_DEP_1)
	v_mul_hi_u32 v2, v12, v2
	v_mul_lo_u32 v6, v2, s28
	v_add_nc_u32_e32 v7, 1, v2
	s_delay_alu instid0(VALU_DEP_2) | instskip(NEXT) | instid1(VALU_DEP_1)
	v_sub_nc_u32_e32 v6, v12, v6
	v_subrev_nc_u32_e32 v10, s28, v6
	v_cmp_le_u32_e32 vcc_lo, s28, v6
	s_wait_alu 0xfffd
	s_delay_alu instid0(VALU_DEP_2) | instskip(SKIP_1) | instid1(VALU_DEP_2)
	v_cndmask_b32_e32 v6, v6, v10, vcc_lo
	v_cndmask_b32_e32 v2, v2, v7, vcc_lo
	v_cmp_le_u32_e32 vcc_lo, s28, v6
	s_delay_alu instid0(VALU_DEP_2) | instskip(SKIP_1) | instid1(VALU_DEP_1)
	v_add_nc_u32_e32 v7, 1, v2
	s_wait_alu 0xfffd
	v_cndmask_b32_e32 v10, v2, v7, vcc_lo
.LBB0_6:                                ;   in Loop: Header=BB0_2 Depth=1
	s_wait_alu 0xfffe
	s_or_b32 exec_lo, exec_lo, s2
	v_mul_lo_u32 v2, v11, s28
	s_delay_alu instid0(VALU_DEP_2)
	v_mul_lo_u32 v14, v10, s29
	s_load_b64 s[30:31], s[22:23], 0x0
	v_mad_co_u64_u32 v[6:7], null, v10, s28, 0
	s_load_b64 s[28:29], s[20:21], 0x0
	s_add_nc_u64 s[24:25], s[24:25], 1
	s_add_nc_u64 s[20:21], s[20:21], 8
	s_wait_alu 0xfffe
	v_cmp_ge_u64_e64 s2, s[24:25], s[10:11]
	s_add_nc_u64 s[22:23], s[22:23], 8
	s_add_nc_u64 s[26:27], s[26:27], 8
	v_add3_u32 v2, v7, v14, v2
	v_sub_co_u32 v6, vcc_lo, v12, v6
	s_wait_alu 0xfffd
	s_delay_alu instid0(VALU_DEP_2) | instskip(SKIP_2) | instid1(VALU_DEP_1)
	v_sub_co_ci_u32_e32 v2, vcc_lo, v13, v2, vcc_lo
	s_and_b32 vcc_lo, exec_lo, s2
	s_wait_kmcnt 0x0
	v_mul_lo_u32 v7, s30, v2
	v_mul_lo_u32 v12, s31, v6
	v_mad_co_u64_u32 v[3:4], null, s30, v6, v[3:4]
	v_mul_lo_u32 v2, s28, v2
	v_mul_lo_u32 v13, s29, v6
	v_mad_co_u64_u32 v[8:9], null, s28, v6, v[8:9]
	s_delay_alu instid0(VALU_DEP_4) | instskip(NEXT) | instid1(VALU_DEP_2)
	v_add3_u32 v4, v12, v4, v7
	v_add3_u32 v9, v13, v9, v2
	s_wait_alu 0xfffe
	s_cbranch_vccnz .LBB0_8
; %bb.7:                                ;   in Loop: Header=BB0_2 Depth=1
	v_dual_mov_b32 v13, v11 :: v_dual_mov_b32 v12, v10
	s_branch .LBB0_2
.LBB0_8:
	s_load_b64 s[0:1], s[0:1], 0x28
	s_lshl_b64 s[10:11], s[10:11], 3
	v_mul_hi_u32 v2, 0x5050506, v0
	s_wait_alu 0xfffe
	s_add_nc_u64 s[2:3], s[14:15], s[10:11]
	v_dual_mov_b32 v5, 0 :: v_dual_mov_b32 v14, 0
	s_load_b64 s[2:3], s[2:3], 0x0
	v_mov_b32_e32 v15, 0
                                        ; implicit-def: $vgpr35
                                        ; implicit-def: $vgpr34
                                        ; implicit-def: $vgpr33
                                        ; implicit-def: $vgpr32
                                        ; implicit-def: $vgpr31
                                        ; implicit-def: $vgpr30
                                        ; implicit-def: $vgpr29
                                        ; implicit-def: $vgpr28
                                        ; implicit-def: $vgpr27
                                        ; implicit-def: $vgpr21
                                        ; implicit-def: $vgpr26
                                        ; implicit-def: $vgpr20
                                        ; implicit-def: $vgpr25
                                        ; implicit-def: $vgpr17
                                        ; implicit-def: $vgpr24
                                        ; implicit-def: $vgpr36
                                        ; implicit-def: $vgpr6
                                        ; implicit-def: $vgpr46
                                        ; implicit-def: $vgpr7
                                        ; implicit-def: $vgpr45
                                        ; implicit-def: $vgpr12
                                        ; implicit-def: $vgpr43
                                        ; implicit-def: $vgpr13
                                        ; implicit-def: $vgpr41
                                        ; implicit-def: $vgpr18
                                        ; implicit-def: $vgpr40
                                        ; implicit-def: $vgpr19
                                        ; implicit-def: $vgpr39
                                        ; implicit-def: $vgpr22
                                        ; implicit-def: $vgpr38
                                        ; implicit-def: $vgpr23
                                        ; implicit-def: $vgpr37
	s_delay_alu instid0(VALU_DEP_3) | instskip(NEXT) | instid1(VALU_DEP_1)
	v_mul_u32_u24_e32 v2, 51, v2
	v_sub_nc_u32_e32 v0, v0, v2
	s_wait_kmcnt 0x0
	v_cmp_gt_u64_e32 vcc_lo, s[0:1], v[10:11]
	s_and_saveexec_b32 s1, vcc_lo
	s_cbranch_execz .LBB0_12
; %bb.9:
	v_cmp_gt_u32_e64 s0, 33, v0
	v_mov_b32_e32 v15, 0
	v_mov_b32_e32 v5, 0
                                        ; implicit-def: $vgpr37
                                        ; implicit-def: $vgpr23
                                        ; implicit-def: $vgpr38
                                        ; implicit-def: $vgpr22
                                        ; implicit-def: $vgpr39
                                        ; implicit-def: $vgpr19
                                        ; implicit-def: $vgpr40
                                        ; implicit-def: $vgpr18
                                        ; implicit-def: $vgpr41
                                        ; implicit-def: $vgpr13
                                        ; implicit-def: $vgpr43
                                        ; implicit-def: $vgpr12
                                        ; implicit-def: $vgpr45
                                        ; implicit-def: $vgpr7
                                        ; implicit-def: $vgpr46
                                        ; implicit-def: $vgpr6
                                        ; implicit-def: $vgpr36
                                        ; implicit-def: $vgpr24
                                        ; implicit-def: $vgpr17
                                        ; implicit-def: $vgpr25
                                        ; implicit-def: $vgpr20
                                        ; implicit-def: $vgpr26
                                        ; implicit-def: $vgpr21
                                        ; implicit-def: $vgpr27
                                        ; implicit-def: $vgpr28
                                        ; implicit-def: $vgpr29
                                        ; implicit-def: $vgpr30
                                        ; implicit-def: $vgpr31
                                        ; implicit-def: $vgpr32
                                        ; implicit-def: $vgpr33
                                        ; implicit-def: $vgpr34
                                        ; implicit-def: $vgpr35
	s_delay_alu instid0(VALU_DEP_3)
	s_and_saveexec_b32 s14, s0
	s_cbranch_execz .LBB0_11
; %bb.10:
	s_add_nc_u64 s[10:11], s[12:13], s[10:11]
	v_mad_co_u64_u32 v[5:6], null, s18, v0, 0
	s_load_b64 s[10:11], s[10:11], 0x0
	v_add_nc_u32_e32 v25, 0x63, v0
	v_lshlrev_b64_e32 v[2:3], 2, v[3:4]
	s_delay_alu instid0(VALU_DEP_3) | instskip(NEXT) | instid1(VALU_DEP_3)
	v_dual_mov_b32 v4, v6 :: v_dual_add_nc_u32 v33, 0x210, v0
	v_mad_co_u64_u32 v[16:17], null, s18, v25, 0
	v_add_nc_u32_e32 v24, 0x42, v0
	s_delay_alu instid0(VALU_DEP_3) | instskip(NEXT) | instid1(VALU_DEP_2)
	v_mad_co_u64_u32 v[6:7], null, s19, v0, v[4:5]
	v_mad_co_u64_u32 v[14:15], null, s18, v24, 0
	v_add_nc_u32_e32 v22, 33, v0
	s_wait_kmcnt 0x0
	v_mul_lo_u32 v23, s11, v10
	v_mul_lo_u32 v27, s10, v11
	s_delay_alu instid0(VALU_DEP_4) | instskip(SKIP_2) | instid1(VALU_DEP_2)
	v_mov_b32_e32 v7, v15
	v_mad_co_u64_u32 v[12:13], null, s18, v22, 0
	v_mad_co_u64_u32 v[18:19], null, s10, v10, 0
	v_dual_mov_b32 v4, v13 :: v_dual_mov_b32 v13, v17
	s_delay_alu instid0(VALU_DEP_2) | instskip(NEXT) | instid1(VALU_DEP_2)
	v_add3_u32 v19, v19, v27, v23
	v_mad_co_u64_u32 v[22:23], null, s19, v22, v[4:5]
	v_mad_co_u64_u32 v[23:24], null, s19, v24, v[7:8]
	s_delay_alu instid0(VALU_DEP_3)
	v_lshlrev_b64_e32 v[17:18], 2, v[18:19]
	v_add_nc_u32_e32 v26, 0x84, v0
	v_mad_co_u64_u32 v[24:25], null, s19, v25, v[13:14]
	v_mov_b32_e32 v13, v22
	v_lshlrev_b64_e32 v[4:5], 2, v[5:6]
	v_add_co_u32 v6, s0, s4, v17
	v_mad_co_u64_u32 v[20:21], null, s18, v26, 0
	s_wait_alu 0xf1ff
	v_add_co_ci_u32_e64 v7, s0, s5, v18, s0
	v_dual_mov_b32 v15, v23 :: v_dual_add_nc_u32 v22, 0xa5, v0
	v_mov_b32_e32 v17, v24
	v_add_co_u32 v29, s0, v6, v2
	s_wait_alu 0xf1ff
	v_add_co_ci_u32_e64 v31, s0, v7, v3, s0
	v_lshlrev_b64_e32 v[2:3], 2, v[12:13]
	v_lshlrev_b64_e32 v[6:7], 2, v[14:15]
	v_mad_co_u64_u32 v[13:14], null, s18, v22, 0
	v_dual_mov_b32 v12, v21 :: v_dual_add_nc_u32 v25, 0xc6, v0
	v_lshlrev_b64_e32 v[15:16], 2, v[16:17]
	v_add_co_u32 v4, s0, v29, v4
	s_wait_alu 0xf1ff
	v_add_co_ci_u32_e64 v5, s0, v31, v5, s0
	v_mad_co_u64_u32 v[18:19], null, s19, v26, v[12:13]
	v_mov_b32_e32 v12, v14
	v_add_co_u32 v2, s0, v29, v2
	s_wait_alu 0xf1ff
	v_add_co_ci_u32_e64 v3, s0, v31, v3, s0
	v_add_co_u32 v6, s0, v29, v6
	v_mov_b32_e32 v21, v18
	v_mad_co_u64_u32 v[17:18], null, s18, v25, 0
	v_mad_co_u64_u32 v[22:23], null, s19, v22, v[12:13]
	v_add_nc_u32_e32 v27, 0xe7, v0
	s_wait_alu 0xf1ff
	v_add_co_ci_u32_e64 v7, s0, v31, v7, s0
	v_add_co_u32 v23, s0, v29, v15
	v_mov_b32_e32 v12, v18
	s_wait_alu 0xf1ff
	v_add_co_ci_u32_e64 v24, s0, v31, v16, s0
	v_lshlrev_b64_e32 v[15:16], 2, v[20:21]
	v_mov_b32_e32 v14, v22
	v_mad_co_u64_u32 v[21:22], null, s19, v25, v[12:13]
	v_mad_co_u64_u32 v[19:20], null, s18, v27, 0
	s_delay_alu instid0(VALU_DEP_4) | instskip(SKIP_2) | instid1(VALU_DEP_4)
	v_add_co_u32 v25, s0, v29, v15
	s_wait_alu 0xf1ff
	v_add_co_ci_u32_e64 v26, s0, v31, v16, s0
	v_dual_mov_b32 v18, v21 :: v_dual_add_nc_u32 v21, 0x129, v0
	v_lshlrev_b64_e32 v[13:14], 2, v[13:14]
	v_mov_b32_e32 v12, v20
	v_add_nc_u32_e32 v22, 0x108, v0
	s_delay_alu instid0(VALU_DEP_4) | instskip(NEXT) | instid1(VALU_DEP_3)
	v_mad_co_u64_u32 v[37:38], null, s18, v21, 0
	v_mad_co_u64_u32 v[15:16], null, s19, v27, v[12:13]
	s_delay_alu instid0(VALU_DEP_3) | instskip(SKIP_3) | instid1(VALU_DEP_4)
	v_mad_co_u64_u32 v[35:36], null, s18, v22, 0
	v_add_co_u32 v12, s0, v29, v13
	s_wait_alu 0xf1ff
	v_add_co_ci_u32_e64 v13, s0, v31, v14, s0
	v_mov_b32_e32 v20, v15
	v_lshlrev_b64_e32 v[14:15], 2, v[17:18]
	v_dual_mov_b32 v16, v36 :: v_dual_add_nc_u32 v27, 0x16b, v0
	s_delay_alu instid0(VALU_DEP_3) | instskip(NEXT) | instid1(VALU_DEP_3)
	v_lshlrev_b64_e32 v[17:18], 2, v[19:20]
	v_add_co_u32 v39, s0, v29, v14
	s_wait_alu 0xf1ff
	s_delay_alu instid0(VALU_DEP_4) | instskip(NEXT) | instid1(VALU_DEP_3)
	v_add_co_ci_u32_e64 v40, s0, v31, v15, s0
	v_mad_co_u64_u32 v[19:20], null, s19, v22, v[16:17]
	v_add_nc_u32_e32 v22, 0x14a, v0
	v_add_co_u32 v16, s0, v29, v17
	v_mov_b32_e32 v14, v38
	s_wait_alu 0xf1ff
	v_add_co_ci_u32_e64 v17, s0, v31, v18, s0
	v_mov_b32_e32 v36, v19
	v_mad_co_u64_u32 v[18:19], null, s18, v22, 0
	v_mad_co_u64_u32 v[14:15], null, s19, v21, v[14:15]
	s_clause 0x7
	global_load_b32 v15, v[4:5], off
	global_load_b32 v34, v[2:3], off
	;; [unrolled: 1-line block ×8, first 2 shown]
	v_mad_co_u64_u32 v[5:6], null, s18, v27, 0
	v_lshlrev_b64_e32 v[2:3], 2, v[35:36]
	v_mov_b32_e32 v4, v19
	v_add_nc_u32_e32 v16, 0x18c, v0
	v_mov_b32_e32 v38, v14
	s_delay_alu instid0(VALU_DEP_3) | instskip(SKIP_1) | instid1(VALU_DEP_3)
	v_mad_co_u64_u32 v[12:13], null, s19, v22, v[4:5]
	v_mov_b32_e32 v4, v6
	v_lshlrev_b64_e32 v[6:7], 2, v[37:38]
	v_add_co_u32 v2, s0, v29, v2
	s_wait_alu 0xf1ff
	v_add_co_ci_u32_e64 v3, s0, v31, v3, s0
	v_mov_b32_e32 v19, v12
	v_mad_co_u64_u32 v[12:13], null, s19, v27, v[4:5]
	v_mad_co_u64_u32 v[13:14], null, s18, v16, 0
	v_add_co_u32 v22, s0, v29, v6
	s_wait_alu 0xf1ff
	v_add_co_ci_u32_e64 v23, s0, v31, v7, s0
	s_delay_alu instid0(VALU_DEP_4) | instskip(NEXT) | instid1(VALU_DEP_4)
	v_dual_mov_b32 v6, v12 :: v_dual_add_nc_u32 v7, 0x1ad, v0
	v_mov_b32_e32 v4, v14
	v_add_nc_u32_e32 v12, 0x1ce, v0
	v_lshlrev_b64_e32 v[18:19], 2, v[18:19]
	s_delay_alu instid0(VALU_DEP_4) | instskip(NEXT) | instid1(VALU_DEP_4)
	v_mad_co_u64_u32 v[24:25], null, s18, v7, 0
	v_mad_co_u64_u32 v[26:27], null, s19, v16, v[4:5]
	s_delay_alu instid0(VALU_DEP_4)
	v_mad_co_u64_u32 v[35:36], null, s18, v12, 0
	v_lshlrev_b64_e32 v[5:6], 2, v[5:6]
	v_add_nc_u32_e32 v16, 0x1ef, v0
	v_mov_b32_e32 v4, v25
	v_add_co_u32 v18, s0, v29, v18
	v_mov_b32_e32 v14, v26
	s_wait_alu 0xf1ff
	v_add_co_ci_u32_e64 v19, s0, v31, v19, s0
	v_mad_co_u64_u32 v[25:26], null, s19, v7, v[4:5]
	v_mad_co_u64_u32 v[26:27], null, s18, v16, 0
	v_mov_b32_e32 v4, v36
	s_delay_alu instid0(VALU_DEP_3) | instskip(NEXT) | instid1(VALU_DEP_2)
	v_lshlrev_b64_e32 v[24:25], 2, v[24:25]
	v_mad_co_u64_u32 v[36:37], null, s19, v12, v[4:5]
	v_add_co_u32 v4, s0, v29, v5
	v_mad_co_u64_u32 v[37:38], null, s18, v33, 0
	s_wait_alu 0xf1ff
	v_add_co_ci_u32_e64 v5, s0, v31, v6, s0
	v_mov_b32_e32 v6, v27
	v_lshlrev_b64_e32 v[12:13], 2, v[13:14]
	v_lshlrev_b64_e32 v[35:36], 2, v[35:36]
	s_delay_alu instid0(VALU_DEP_3) | instskip(SKIP_1) | instid1(VALU_DEP_4)
	v_mad_co_u64_u32 v[6:7], null, s19, v16, v[6:7]
	v_mov_b32_e32 v7, v38
	v_add_co_u32 v12, s0, v29, v12
	s_wait_alu 0xf1ff
	v_add_co_ci_u32_e64 v13, s0, v31, v13, s0
	s_delay_alu instid0(VALU_DEP_3) | instskip(SKIP_4) | instid1(VALU_DEP_3)
	v_mad_co_u64_u32 v[38:39], null, s19, v33, v[7:8]
	v_mov_b32_e32 v27, v6
	v_add_co_u32 v6, s0, v29, v24
	s_wait_alu 0xf1ff
	v_add_co_ci_u32_e64 v7, s0, v31, v25, s0
	v_lshlrev_b64_e32 v[24:25], 2, v[26:27]
	v_add_co_u32 v26, s0, v29, v35
	s_wait_alu 0xf1ff
	v_add_co_ci_u32_e64 v27, s0, v31, v36, s0
	v_lshlrev_b64_e32 v[35:36], 2, v[37:38]
	s_delay_alu instid0(VALU_DEP_4) | instskip(SKIP_2) | instid1(VALU_DEP_3)
	v_add_co_u32 v24, s0, v29, v24
	s_wait_alu 0xf1ff
	v_add_co_ci_u32_e64 v25, s0, v31, v25, s0
	v_add_co_u32 v46, s0, v29, v35
	s_wait_alu 0xf1ff
	v_add_co_ci_u32_e64 v47, s0, v31, v36, s0
	s_clause 0x8
	global_load_b32 v36, v[2:3], off
	global_load_b32 v37, v[22:23], off
	;; [unrolled: 1-line block ×9, first 2 shown]
	s_wait_loadcnt 0x10
	v_lshrrev_b32_e32 v5, 16, v15
	s_wait_loadcnt 0xf
	v_lshrrev_b32_e32 v35, 16, v34
	;; [unrolled: 2-line block ×17, first 2 shown]
.LBB0_11:
	s_or_b32 exec_lo, exec_lo, s14
	v_mov_b32_e32 v14, v0
.LBB0_12:
	s_wait_alu 0xfffe
	s_or_b32 exec_lo, exec_lo, s1
	v_add_f16_e32 v71, v34, v46
	v_sub_f16_e32 v50, v35, v6
	v_add_f16_e32 v72, v32, v45
	v_sub_f16_e32 v49, v33, v7
	v_add_f16_e32 v73, v30, v43
	v_mul_f16_e32 v52, 0xbbdd, v71
	v_sub_f16_e32 v54, v31, v12
	v_mul_f16_e32 v51, 0x3b76, v72
	v_pk_mul_f16 v63, 0xb8d2bacd, v71 op_sel_hi:[1,0]
	v_mul_f16_e32 v48, 0xbacd, v73
	v_fmamk_f16 v3, v50, 0xb1e1, v52
	v_add_f16_e32 v74, v28, v41
	v_fmamk_f16 v4, v49, 0x35c8, v51
	v_pk_mul_f16 v62, 0xb4613722, v72 op_sel_hi:[1,0]
	v_fmamk_f16 v16, v54, 0xb836, v48
	v_add_f16_e32 v3, v15, v3
	v_sub_f16_e32 v56, v29, v13
	v_add_f16_e32 v70, v21, v40
	v_mul_f16_e32 v44, 0x39e9, v74
	v_pk_mul_f16 v61, 0x3b762de8, v73 op_sel_hi:[1,0]
	v_add_f16_e32 v3, v3, v4
	v_pk_fma_f16 v4, 0xba62b836, v50, v63 op_sel_hi:[1,0,1]
	v_sub_f16_e32 v59, v27, v18
	v_fmamk_f16 v42, v56, 0x3964, v44
	v_mul_f16_e32 v55, 0xb8d2, v70
	v_add_f16_e32 v3, v3, v16
	v_pk_fma_f16 v16, 0x3bb23b29, v49, v62 op_sel_hi:[1,0,1]
	v_pk_add_f16 v4, v15, v4 op_sel_hi:[0,1]
	v_add_f16_e32 v69, v20, v39
	v_pk_mul_f16 v60, 0xbacdb8d2, v74 op_sel_hi:[1,0]
	v_mul_hi_u32 v2, 0xcccccccd, v1
	v_add_f16_e32 v3, v3, v42
	v_pk_add_f16 v4, v4, v16
	v_pk_fma_f16 v16, 0xb5c8bbf7, v54, v61 op_sel_hi:[1,0,1]
	v_fmamk_f16 v42, v59, 0xba62, v55
	v_sub_f16_e32 v66, v26, v19
	v_mul_f16_e32 v53, 0x3722, v69
	v_pk_mul_f16 v58, 0x2de83b76, v70 op_sel_hi:[1,0]
	v_pk_add_f16 v4, v4, v16
	v_pk_fma_f16 v16, 0xb8363a62, v56, v60 op_sel_hi:[1,0,1]
	v_lshrrev_b32_e32 v2, 2, v2
	v_add_f16_e32 v3, v3, v42
	v_fmamk_f16 v42, v66, 0x3b29, v53
	v_add_f16_e32 v64, v17, v38
	v_pk_add_f16 v4, v4, v16
	v_pk_fma_f16 v16, 0x3bf7b5c8, v59, v58 op_sel_hi:[1,0,1]
	v_pk_mul_f16 v57, 0x39e9bbdd, v69 op_sel_hi:[1,0]
	v_lshl_add_u32 v2, v2, 2, v2
	v_add_f16_e32 v3, v3, v42
	v_sub_f16_e32 v65, v25, v22
	v_mul_f16_e32 v42, 0xb461, v64
	v_pk_add_f16 v4, v4, v16
	v_pk_fma_f16 v16, 0xb964b1e1, v66, v57 op_sel_hi:[1,0,1]
	v_pk_mul_f16 v47, 0xbbdd39e9, v64 op_sel_hi:[1,0]
	v_add_f16_e32 v67, v36, v37
	v_fmamk_f16 v75, v65, 0xbbb2, v42
	v_sub_f16_e32 v68, v24, v23
	v_pk_add_f16 v76, v4, v16
	v_pk_fma_f16 v77, 0xb1e13964, v65, v47 op_sel_hi:[1,0,1]
	v_pk_mul_f16 v4, 0x3722b461, v67 op_sel_hi:[1,0]
	v_mul_f16_e32 v16, 0x2de8, v67
	v_sub_nc_u32_e32 v1, v1, v2
	v_add_f16_e32 v2, v3, v75
	v_pk_add_f16 v3, v76, v77
	v_pk_fma_f16 v75, 0x3b29bbb2, v68, v4 op_sel_hi:[1,0,1]
	v_fmamk_f16 v76, v68, 0x3bf7, v16
	v_mul_u32_u24_e32 v1, 0x231, v1
	v_cmp_gt_u32_e64 s1, 33, v0
	s_delay_alu instid0(VALU_DEP_4) | instskip(NEXT) | instid1(VALU_DEP_4)
	v_pk_add_f16 v3, v3, v75
	v_add_f16_e32 v2, v2, v76
	s_delay_alu instid0(VALU_DEP_4) | instskip(NEXT) | instid1(VALU_DEP_4)
	v_lshlrev_b32_e32 v1, 1, v1
	s_and_saveexec_b32 s0, s1
	s_cbranch_execz .LBB0_14
; %bb.13:
	v_pack_b32_f16 v76, v50, v50
	v_pack_b32_f16 v75, v71, v71
	;; [unrolled: 1-line block ×5, first 2 shown]
	v_pk_mul_f16 v90, 0xb964b5c8, v76
	v_pack_b32_f16 v82, v73, v73
	v_pk_mul_f16 v96, 0xbbf7b964, v80
	v_pack_b32_f16 v86, v56, v56
	v_pk_mul_f16 v100, 0xba62bb29, v83
	v_fmamk_f16 v95, v75, 0x3b76, v90
	v_pack_b32_f16 v85, v74, v74
	v_fmamk_f16 v99, v79, 0x39e9, v96
	v_pack_b32_f16 v89, v59, v59
	v_pk_mul_f16 v103, 0xb1e1bbf7, v86
	v_add_f16_e32 v95, v15, v95
	v_perm_b32 v78, v15, v15, 0x5040100
	v_pack_b32_f16 v88, v70, v70
	v_pack_b32_f16 v92, v66, v66
	v_pk_mul_f16 v105, 0x3836bbb2, v89
	v_add_f16_e32 v95, v95, v99
	v_fmamk_f16 v99, v82, 0x3722, v100
	v_pk_fma_f16 v90, 0x39e93b76, v75, v90 neg_lo:[0,0,1] neg_hi:[0,0,1]
	v_pack_b32_f16 v91, v69, v69
	v_pack_b32_f16 v94, v65, v65
	v_pk_mul_f16 v107, 0x3bb2ba62, v92
	v_add_f16_e32 v95, v95, v99
	v_fmamk_f16 v99, v85, 0x2de8, v103
	v_pk_add_f16 v90, v78, v90
	v_pk_fma_f16 v96, 0x2de839e9, v79, v96 neg_lo:[0,0,1] neg_hi:[0,0,1]
	v_pack_b32_f16 v93, v64, v64
	v_pack_b32_f16 v98, v68, v68
	v_add_f16_e32 v95, v95, v99
	v_fmamk_f16 v99, v88, 0xb461, v105
	v_pk_mul_f16 v106, 0xbbf7bb29, v76
	v_pk_mul_f16 v109, 0x3b29b836, v94
	v_pk_add_f16 v90, v90, v96
	v_pk_fma_f16 v96, 0xb8d23722, v82, v100 neg_lo:[0,0,1] neg_hi:[0,0,1]
	v_add_f16_e32 v95, v95, v99
	v_fmamk_f16 v99, v91, 0xb8d2, v107
	v_pk_mul_f16 v77, 0xba62b836, v50 op_sel_hi:[1,0]
	v_pack_b32_f16 v97, v67, v67
	v_mul_f16_e32 v71, 0xb461, v71
	v_mul_f16_e32 v101, 0xbbb2, v50
	v_pk_mul_f16 v108, 0xb1e1ba62, v80
	v_pk_mul_f16 v110, 0x35c8b1e1, v98
	v_add_f16_e32 v95, v95, v99
	v_fmamk_f16 v99, v93, 0xbacd, v109
	v_pk_add_f16 v90, v90, v96
	v_pk_fma_f16 v96, 0xbbdd2de8, v85, v103 neg_lo:[0,0,1] neg_hi:[0,0,1]
	v_pk_fma_f16 v103, 0x2de83722, v75, v106 neg_lo:[0,0,1] neg_hi:[0,0,1]
	v_pk_mul_f16 v81, 0x3bb23b29, v49 op_sel_hi:[1,0]
	v_mul_f16_e32 v72, 0xbacd, v72
	v_mul_f16_e32 v102, 0x3836, v49
	v_pk_mul_f16 v100, 0x3bb231e1, v83
	v_add_f16_e32 v95, v95, v99
	v_fmamk_f16 v99, v97, 0xbbdd, v110
	v_pk_add_f16 v90, v90, v96
	v_pk_add_f16 v96, v78, v103
	v_pk_fma_f16 v103, 0xbbddb8d2, v79, v108 neg_lo:[0,0,1] neg_hi:[0,0,1]
	v_bfi_b32 v112, 0xffff, v71, v63
	v_bfi_b32 v113, 0xffff, v101, v77
	v_pk_mul_f16 v84, 0xb5c8bbf7, v54 op_sel_hi:[1,0]
	v_mul_f16_e32 v73, 0x39e9, v73
	v_mul_f16_e32 v104, 0x3964, v54
	v_pk_fma_f16 v105, 0xbacdb461, v88, v105 neg_lo:[0,0,1] neg_hi:[0,0,1]
	v_add_f16_e32 v95, v95, v99
	v_pk_add_f16 v96, v96, v103
	v_pk_fma_f16 v99, 0xb461bbdd, v82, v100 neg_lo:[0,0,1] neg_hi:[0,0,1]
	v_pk_add_f16 v103, v112, v113 neg_lo:[0,1] neg_hi:[0,1]
	v_bfi_b32 v112, 0xffff, v72, v62
	v_bfi_b32 v113, 0xffff, v102, v81
	v_mul_f16_e32 v50, 0xb1e1, v50
	v_pk_add_f16 v90, v90, v105
	v_pk_fma_f16 v105, 0xb461b8d2, v91, v107 neg_lo:[0,0,1] neg_hi:[0,0,1]
	v_pk_add_f16 v96, v96, v99
	v_pk_add_f16 v99, v78, v103
	v_pk_add_f16 v103, v112, v113 neg_lo:[0,1] neg_hi:[0,1]
	v_bfi_b32 v107, 0xffff, v73, v61
	v_bfi_b32 v112, 0xffff, v104, v84
	v_perm_b32 v52, v52, v63, 0x5040100
	v_perm_b32 v50, v50, v77, 0x5040100
	v_mul_f16_e32 v49, 0x35c8, v49
	v_pk_mul_f16 v87, 0xb8363a62, v56 op_sel_hi:[1,0]
	v_mul_f16_e32 v74, 0x3722, v74
	v_pk_add_f16 v90, v90, v105
	v_mul_f16_e32 v105, 0xbb29, v56
	v_pk_add_f16 v99, v99, v103
	v_pk_add_f16 v103, v107, v112 neg_lo:[0,1] neg_hi:[0,1]
	v_mul_f16_e32 v54, 0xb836, v54
	v_perm_b32 v51, v51, v62, 0x5040100
	v_perm_b32 v49, v49, v81, 0x5040100
	v_pk_add_f16 v50, v52, v50 neg_lo:[0,1] neg_hi:[0,1]
	v_add_f16_e32 v15, v15, v34
	v_bfi_b32 v107, 0xffff, v74, v60
	v_bfi_b32 v112, 0xffff, v105, v87
	v_pk_add_f16 v99, v99, v103
	v_mul_f16_e32 v70, 0xbbdd, v70
	v_pk_mul_f16 v103, 0x3bf7b5c8, v59 op_sel_hi:[1,0]
	v_mul_f16_e32 v114, 0xb1e1, v59
	v_mul_f16_e32 v56, 0x3964, v56
	v_pk_add_f16 v49, v51, v49 neg_lo:[0,1] neg_hi:[0,1]
	v_pk_add_f16 v50, v78, v50
	v_perm_b32 v48, v48, v61, 0x5040100
	v_perm_b32 v54, v54, v84, 0x5040100
	v_add_f16_e32 v15, v15, v32
	v_pk_add_f16 v107, v107, v112 neg_lo:[0,1] neg_hi:[0,1]
	v_bfi_b32 v115, 0xffff, v70, v58
	v_bfi_b32 v116, 0xffff, v114, v103
	v_mul_f16_e32 v59, 0xba62, v59
	v_pk_add_f16 v49, v50, v49
	v_pk_add_f16 v48, v48, v54 neg_lo:[0,1] neg_hi:[0,1]
	v_perm_b32 v44, v44, v60, 0x5040100
	v_perm_b32 v56, v56, v87, 0x5040100
	v_add_f16_e32 v15, v15, v30
	v_pk_add_f16 v99, v99, v107
	v_pk_add_f16 v107, v115, v116 neg_lo:[0,1] neg_hi:[0,1]
	v_mul_f16_e32 v69, 0x2de8, v69
	v_pk_mul_f16 v115, 0xb964b1e1, v66 op_sel_hi:[1,0]
	v_mul_f16_e32 v63, 0x3b29, v66
	v_pk_mul_f16 v61, 0x2de83722, v75
	v_pk_add_f16 v48, v49, v48
	v_pk_add_f16 v44, v44, v56 neg_lo:[0,1] neg_hi:[0,1]
	v_perm_b32 v55, v55, v58, 0x5040100
	v_perm_b32 v59, v59, v103, 0x5040100
	v_add_f16_e32 v15, v15, v28
	v_bfi_b32 v118, 0xffff, v69, v57
	v_pk_mul_f16 v77, 0xbbddb8d2, v79
	v_pk_add_f16 v44, v48, v44
	v_pk_add_f16 v55, v55, v59 neg_lo:[0,1] neg_hi:[0,1]
	v_perm_b32 v53, v53, v57, 0x5040100
	v_perm_b32 v57, v63, v115, 0x5040100
	v_bfi_b32 v59, 0xffff, v101, v106
	v_bfi_b32 v61, 0xffff, v71, v61
	v_add_f16_e32 v15, v15, v21
	v_pk_mul_f16 v111, 0x35c83bb2, v86
	v_pk_mul_f16 v50, 0xb461bbdd, v82
	v_pk_add_f16 v44, v44, v55
	v_pk_add_f16 v53, v53, v57 neg_lo:[0,1] neg_hi:[0,1]
	v_pk_add_f16 v55, v59, v61
	v_bfi_b32 v57, 0xffff, v102, v108
	v_bfi_b32 v59, 0xffff, v72, v77
	v_add_f16_e32 v15, v15, v20
	v_pk_fma_f16 v113, 0x3b76b461, v85, v111 neg_lo:[0,0,1] neg_hi:[0,0,1]
	v_mul_f16_e32 v116, 0x3bf7, v66
	v_mul_f16_e32 v62, 0xbbb2, v65
	v_pk_mul_f16 v66, 0xb1e13964, v65 op_sel_hi:[1,0]
	v_mul_f16_e32 v64, 0x3b76, v64
	v_pk_mul_f16 v54, 0x3b76b461, v85
	v_pk_add_f16 v44, v44, v53
	v_pk_add_f16 v53, v78, v55
	;; [unrolled: 1-line block ×3, first 2 shown]
	v_bfi_b32 v57, 0xffff, v104, v100
	v_bfi_b32 v50, 0xffff, v73, v50
	v_pk_mul_f16 v59, 0x39e93722, v75
	v_add_f16_e32 v15, v15, v17
	v_pk_add_f16 v96, v96, v113
	v_pk_mul_f16 v113, 0xbb293964, v89
	v_bfi_b32 v60, 0xffff, v64, v47
	v_perm_b32 v42, v42, v47, 0x5040100
	v_perm_b32 v47, v62, v66, 0x5040100
	v_pk_add_f16 v53, v53, v55
	v_pk_add_f16 v50, v57, v50
	v_bfi_b32 v55, 0xffff, v105, v111
	v_bfi_b32 v54, 0xffff, v74, v54
	v_pk_fma_f16 v57, 0xb964bb29, v76, v59
	v_pk_mul_f16 v59, 0x2de8b8d2, v79
	v_add_f16_e32 v15, v15, v36
	v_pk_fma_f16 v112, 0x372239e9, v88, v113 neg_lo:[0,0,1] neg_hi:[0,0,1]
	v_pk_mul_f16 v49, 0x372239e9, v88
	v_pk_add_f16 v42, v42, v47 neg_lo:[0,1] neg_hi:[0,1]
	v_pk_add_f16 v47, v53, v50
	v_pk_add_f16 v50, v55, v54
	v_pk_add_f16 v53, v78, v57
	v_pk_fma_f16 v54, 0xbbf7ba62, v80, v59
	v_pk_mul_f16 v55, 0xb8d2bbdd, v82
	v_add_f16_e32 v15, v15, v37
	v_pk_add_f16 v96, v96, v112
	v_pk_mul_f16 v112, 0xb836b5c8, v92
	v_mul_f16_e32 v65, 0xb5c8, v65
	v_pk_mul_f16 v56, 0xbacd3b76, v91
	v_bfi_b32 v57, 0xffff, v114, v113
	v_bfi_b32 v49, 0xffff, v70, v49
	v_pk_add_f16 v47, v47, v50
	v_pk_add_f16 v50, v53, v54
	v_pk_fma_f16 v53, 0xba6231e1, v83, v55
	v_pk_mul_f16 v54, 0xbbddb461, v85
	v_add_f16_e32 v15, v38, v15
	v_mul_f16_e32 v67, 0xb8d2, v67
	v_bfi_b32 v81, 0xffff, v65, v66
	v_pk_add_f16 v49, v57, v49
	v_bfi_b32 v55, 0xffff, v116, v112
	v_bfi_b32 v56, 0xffff, v69, v56
	v_pk_add_f16 v50, v50, v53
	v_pk_fma_f16 v53, 0xb1e13bb2, v86, v54
	v_pk_mul_f16 v54, 0xbacd39e9, v88
	v_add_f16_e32 v15, v39, v15
	v_pk_mul_f16 v119, 0x3a62bbf7, v94
	v_pk_add_f16 v60, v60, v81 neg_lo:[0,1] neg_hi:[0,1]
	v_pk_mul_f16 v81, 0xb8d22de8, v93
	v_bfi_b32 v61, 0xffff, v67, v4
	v_perm_b32 v4, v16, v4, 0x5040100
	v_pk_add_f16 v16, v47, v49
	v_pk_add_f16 v47, v55, v56
	;; [unrolled: 1-line block ×3, first 2 shown]
	v_pk_fma_f16 v50, 0x38363964, v89, v54
	v_pk_mul_f16 v53, 0xb4613b76, v91
	v_add_f16_e32 v15, v40, v15
	v_pk_fma_f16 v117, 0xbacd3b76, v91, v112 neg_lo:[0,0,1] neg_hi:[0,0,1]
	v_bfi_b32 v120, 0xffff, v116, v115
	v_pk_mul_f16 v52, 0x3b29bbb2, v68 op_sel_hi:[1,0]
	v_mul_f16_e32 v51, 0x3bf7, v68
	v_mul_f16_e32 v68, 0xba62, v68
	v_pk_mul_f16 v58, 0x39e9bacd, v97
	v_pk_mul_f16 v84, 0x3964b836, v98
	v_bfi_b32 v54, 0xffff, v65, v119
	v_bfi_b32 v55, 0xffff, v64, v81
	v_pk_add_f16 v16, v16, v47
	v_pk_add_f16 v47, v49, v50
	v_pk_fma_f16 v49, 0x3bb2b5c8, v92, v53
	v_pk_mul_f16 v50, 0x37222de8, v93
	v_add_f16_e32 v15, v41, v15
	v_pk_add_f16 v96, v96, v117
	v_pk_add_f16 v99, v99, v107
	v_pk_add_f16 v117, v118, v120 neg_lo:[0,1] neg_hi:[0,1]
	v_pk_add_f16 v53, v54, v55
	v_bfi_b32 v54, 0xffff, v68, v84
	v_bfi_b32 v55, 0xffff, v67, v58
	v_pk_add_f16 v47, v47, v49
	v_pk_fma_f16 v49, 0x3b29bbf7, v94, v50
	v_pk_mul_f16 v50, 0x3b76bacd, v97
	v_add_f16_e32 v15, v43, v15
	v_pk_fma_f16 v109, 0x3722bacd, v93, v109 neg_lo:[0,0,1] neg_hi:[0,0,1]
	v_pk_fma_f16 v107, 0xb8d22de8, v93, v119 neg_lo:[0,0,1] neg_hi:[0,0,1]
	v_pk_add_f16 v99, v99, v117
	v_mul_u32_u24_e32 v48, 34, v0
	v_bfi_b32 v71, 0xffff, v68, v52
	v_perm_b32 v51, v51, v52, 0x5040100
	v_pk_add_f16 v16, v16, v53
	v_pk_add_f16 v52, v54, v55
	;; [unrolled: 1-line block ×3, first 2 shown]
	v_pk_fma_f16 v49, 0x35c8b836, v98, v50
	v_add_f16_e32 v15, v45, v15
	v_pk_add_f16 v90, v90, v109
	v_pk_add_f16 v96, v96, v107
	v_add3_u32 v87, 0, v48, v1
	v_pk_fma_f16 v48, 0x3b76bbdd, v97, v110 neg_lo:[0,0,1] neg_hi:[0,0,1]
	v_pk_fma_f16 v63, 0x39e9bacd, v97, v84 neg_lo:[0,0,1] neg_hi:[0,0,1]
	v_pk_add_f16 v60, v99, v60
	v_pk_add_f16 v50, v61, v71 neg_lo:[0,1] neg_hi:[0,1]
	v_pk_add_f16 v42, v44, v42
	v_pk_add_f16 v4, v4, v51 neg_lo:[0,1] neg_hi:[0,1]
	v_pk_add_f16 v16, v16, v52
	v_pk_add_f16 v44, v47, v49
	v_add_f16_e32 v15, v46, v15
	v_pk_add_f16 v47, v90, v48
	v_pk_add_f16 v48, v96, v63
	;; [unrolled: 1-line block ×4, first 2 shown]
	v_alignbit_b32 v53, v44, v16, 16
	v_alignbit_b32 v52, v16, v3, 16
	;; [unrolled: 1-line block ×3, first 2 shown]
	v_perm_b32 v51, v3, v2, 0x5040100
	ds_store_b16 v87, v15
	ds_store_b128 v87, v[47:50] offset:2
	ds_store_b128 v87, v[51:54] offset:18
.LBB0_14:
	s_wait_alu 0xfffe
	s_or_b32 exec_lo, exec_lo, s0
	v_lshlrev_b32_e32 v4, 1, v0
	global_wb scope:SCOPE_SE
	s_wait_dscnt 0x0
	s_barrier_signal -1
	s_barrier_wait -1
	global_inv scope:SCOPE_SE
	v_add_nc_u32_e32 v53, 0, v4
	v_add3_u32 v16, 0, v1, v4
	v_cmp_gt_u32_e64 s0, 34, v0
	s_delay_alu instid0(VALU_DEP_3)
	v_add_nc_u32_e32 v15, v53, v1
	ds_load_u16 v4, v16
	ds_load_u16 v42, v15 offset:102
	ds_load_u16 v48, v15 offset:476
	;; [unrolled: 1-line block ×8, first 2 shown]
	s_and_saveexec_b32 s4, s0
	s_cbranch_execz .LBB0_16
; %bb.15:
	ds_load_u16 v3, v15 offset:680
	ds_load_u16 v2, v15 offset:306
	s_wait_dscnt 0x1
	ds_load_u16_d16_hi v3, v15 offset:1054
.LBB0_16:
	s_wait_alu 0xfffe
	s_or_b32 exec_lo, exec_lo, s4
	v_sub_f16_e32 v65, v34, v46
	v_add_f16_e32 v67, v35, v6
	v_sub_f16_e32 v68, v32, v45
	v_add_f16_e32 v69, v33, v7
	v_sub_f16_e32 v71, v30, v43
	v_mul_f16_e32 v34, 0xb1e1, v65
	v_sub_f16_e32 v59, v28, v41
	v_mul_f16_e32 v32, 0x35c8, v68
	v_pk_mul_f16 v54, 0xba62b836, v65 op_sel_hi:[1,0]
	v_add_f16_e32 v70, v31, v12
	v_fma_f16 v28, v67, 0xbbdd, -v34
	v_mul_f16_e32 v30, 0xb836, v71
	v_fma_f16 v45, v69, 0x3b76, -v32
	v_pk_mul_f16 v43, 0x3bb23b29, v68 op_sel_hi:[1,0]
	v_pk_fma_f16 v55, 0xb8d2bacd, v67, v54 op_sel_hi:[1,0,1] neg_lo:[0,0,1] neg_hi:[0,0,1]
	v_add_f16_e32 v28, v5, v28
	v_add_f16_e32 v66, v29, v13
	v_mul_f16_e32 v41, 0x3964, v59
	v_fma_f16 v46, v70, 0xbacd, -v30
	v_sub_f16_e32 v62, v21, v40
	v_add_f16_e32 v28, v28, v45
	v_pk_fma_f16 v40, 0xb4613722, v69, v43 op_sel_hi:[1,0,1] neg_lo:[0,0,1] neg_hi:[0,0,1]
	v_pk_add_f16 v45, v5, v55 op_sel_hi:[0,1]
	v_pk_mul_f16 v55, 0xb5c8bbf7, v71 op_sel_hi:[1,0]
	v_add_f16_e32 v58, v27, v18
	v_fma_f16 v21, v66, 0x39e9, -v41
	v_add_f16_e32 v28, v28, v46
	v_sub_f16_e32 v61, v20, v39
	v_mul_f16_e32 v20, 0xba62, v62
	v_pk_add_f16 v39, v45, v40
	v_pk_fma_f16 v40, 0x3b762de8, v70, v55 op_sel_hi:[1,0,1] neg_lo:[0,0,1] neg_hi:[0,0,1]
	v_pk_mul_f16 v46, 0xb8363a62, v59 op_sel_hi:[1,0]
	v_add_f16_e32 v28, v28, v21
	v_fma_f16 v56, v58, 0xb8d2, -v20
	v_add_f16_e32 v64, v26, v19
	v_mul_f16_e32 v21, 0x3b29, v61
	v_pk_add_f16 v39, v39, v40
	v_pk_fma_f16 v40, 0xbacdb8d2, v66, v46 op_sel_hi:[1,0,1] neg_lo:[0,0,1] neg_hi:[0,0,1]
	v_pk_mul_f16 v45, 0x3bf7b5c8, v62 op_sel_hi:[1,0]
	v_add_f16_e32 v28, v28, v56
	v_fma_f16 v56, v64, 0x3722, -v21
	v_sub_f16_e32 v60, v17, v38
	v_pk_add_f16 v17, v39, v40
	v_pk_fma_f16 v39, 0x2de83b76, v58, v45 op_sel_hi:[1,0,1] neg_lo:[0,0,1] neg_hi:[0,0,1]
	v_pk_mul_f16 v40, 0xb964b1e1, v61 op_sel_hi:[1,0]
	v_add_f16_e32 v28, v28, v56
	v_add_f16_e32 v63, v25, v22
	v_mul_f16_e32 v38, 0xbbb2, v60
	v_pk_add_f16 v17, v17, v39
	v_pk_fma_f16 v72, 0x39e9bbdd, v64, v40 op_sel_hi:[1,0,1] neg_lo:[0,0,1] neg_hi:[0,0,1]
	v_pk_mul_f16 v39, 0xb1e13964, v60 op_sel_hi:[1,0]
	v_sub_f16_e32 v56, v36, v37
	v_fma_f16 v73, v63, 0xb461, -v38
	v_add_f16_e32 v57, v24, v23
	v_pk_add_f16 v17, v17, v72
	v_pk_fma_f16 v72, 0xbbdd39e9, v63, v39 op_sel_hi:[1,0,1] neg_lo:[0,0,1] neg_hi:[0,0,1]
	v_pk_mul_f16 v36, 0x3b29bbb2, v56 op_sel_hi:[1,0]
	v_mul_f16_e32 v37, 0x3bf7, v56
	v_add_f16_e32 v28, v28, v73
	global_wb scope:SCOPE_SE
	s_wait_dscnt 0x0
	v_pk_add_f16 v17, v17, v72
	v_pk_fma_f16 v72, 0x3722b461, v57, v36 op_sel_hi:[1,0,1] neg_lo:[0,0,1] neg_hi:[0,0,1]
	v_fma_f16 v73, v57, 0x2de8, -v37
	s_barrier_signal -1
	s_barrier_wait -1
	global_inv scope:SCOPE_SE
	v_pk_add_f16 v17, v17, v72
	v_add_f16_e32 v28, v28, v73
	s_and_saveexec_b32 s4, s1
	s_cbranch_execz .LBB0_18
; %bb.17:
	v_add_f16_e32 v35, v5, v35
	v_mul_f16_e32 v74, 0xbacd, v70
	v_pack_b32_f16 v78, v67, v67
	v_pack_b32_f16 v81, v68, v68
	v_pack_b32_f16 v82, v71, v71
	v_add_f16_e32 v33, v35, v33
	v_pk_mul_f16 v92, 0x3b762de8, v70 op_sel_hi:[1,0]
	v_mul_f16_e32 v75, 0x39e9, v66
	v_pack_b32_f16 v80, v69, v69
	v_pack_b32_f16 v83, v66, v66
	v_add_f16_e32 v31, v33, v31
	v_pack_b32_f16 v33, v65, v65
	v_pk_mul_f16 v93, 0xbacdb8d2, v66 op_sel_hi:[1,0]
	v_perm_b32 v79, v5, v5, 0x5040100
	v_pack_b32_f16 v84, v59, v59
	v_add_f16_e32 v29, v31, v29
	v_pack_b32_f16 v31, v70, v70
	v_pk_mul_f16 v97, 0xba62bb29, v82
	v_pack_b32_f16 v85, v62, v62
	v_pack_b32_f16 v87, v61, v61
	v_add_f16_e32 v27, v29, v27
	v_pack_b32_f16 v29, v58, v58
	v_mul_f16_e32 v35, 0xb8d2, v58
	v_pack_b32_f16 v86, v64, v64
	v_pack_b32_f16 v88, v60, v60
	v_add_f16_e32 v26, v27, v26
	v_mul_f16_e32 v76, 0x3722, v64
	v_pack_b32_f16 v27, v63, v63
	v_pk_mul_f16 v94, 0x39e9bbdd, v64 op_sel_hi:[1,0]
	v_pack_b32_f16 v89, v57, v57
	v_add_f16_e32 v25, v26, v25
	v_pack_b32_f16 v90, v56, v56
	v_mul_f16_e32 v72, 0xbbdd, v67
	v_pk_mul_f16 v26, 0xb8d2bacd, v67 op_sel_hi:[1,0]
	v_mul_f16_e32 v67, 0xb461, v67
	v_add_f16_e32 v24, v25, v24
	v_pk_mul_f16 v25, 0x2de83b76, v58 op_sel_hi:[1,0]
	v_mul_f16_e32 v65, 0xbbb2, v65
	v_pk_mul_f16 v100, 0xb461bbdd, v31
	v_mul_f16_e32 v73, 0x3b76, v69
	v_add_f16_e32 v23, v24, v23
	v_pk_mul_f16 v91, 0xb4613722, v69 op_sel_hi:[1,0]
	v_mul_f16_e32 v69, 0xbacd, v69
	v_pk_mul_f16 v101, 0x3b76b461, v83
	v_pk_mul_f16 v103, 0x3a62bbf7, v88
	v_add_f16_e32 v22, v22, v23
	v_mul_f16_e32 v23, 0x3836, v68
	v_mul_f16_e32 v68, 0x39e9, v70
	;; [unrolled: 1-line block ×3, first 2 shown]
	v_pk_mul_f16 v71, 0xb964b5c8, v33
	v_add_f16_e32 v19, v19, v22
	v_mul_f16_e32 v22, 0x3722, v66
	v_pk_mul_f16 v66, 0xbbf7b964, v81
	v_mul_f16_e32 v62, 0xb1e1, v62
	v_fma_f16 v98, v78, 0x3b76, -v71
	v_add_f16_e32 v18, v18, v19
	v_pk_fma_f16 v71, 0x39e93b76, v78, v71
	v_fma_f16 v99, v80, 0x39e9, -v66
	v_pk_mul_f16 v19, 0xb1e1bbf7, v84
	v_add_f16_e32 v5, v5, v98
	v_add_f16_e32 v13, v13, v18
	v_pk_fma_f16 v18, 0x2de839e9, v80, v66
	v_fma_f16 v66, v31, 0x3722, -v97
	v_pk_add_f16 v71, v79, v71
	v_add_f16_e32 v5, v5, v99
	v_add_f16_e32 v12, v12, v13
	v_pk_fma_f16 v13, 0xb8d23722, v31, v97
	v_fma_f16 v97, v83, 0x2de8, -v19
	v_pk_add_f16 v18, v71, v18
	v_add_f16_e32 v5, v5, v66
	v_add_f16_e32 v7, v7, v12
	v_mul_f16_e32 v12, 0xbb29, v59
	v_pk_mul_f16 v59, 0x3836bbb2, v85
	v_pk_add_f16 v13, v18, v13
	v_add_f16_e32 v5, v5, v97
	v_add_f16_e32 v6, v6, v7
	v_pk_fma_f16 v7, 0xbbdd2de8, v83, v19
	v_fma_f16 v18, v29, 0xb461, -v59
	v_mul_f16_e32 v19, 0xbbdd, v58
	v_pk_mul_f16 v58, 0x3bb2ba62, v87
	v_pk_mul_f16 v71, 0x35c8b1e1, v90
	v_pk_add_f16 v7, v13, v7
	v_add_f16_e32 v5, v5, v18
	v_pk_fma_f16 v13, 0xbacdb461, v29, v59
	v_fma_f16 v18, v86, 0xb8d2, -v58
	v_mul_f16_e32 v59, 0x2de8, v64
	v_pk_mul_f16 v64, 0x3b29b836, v88
	v_pk_mul_f16 v66, 0xb1e1ba62, v81
	v_pk_add_f16 v7, v7, v13
	v_add_f16_e32 v5, v5, v18
	v_pk_fma_f16 v13, 0xb461b8d2, v86, v58
	v_fma_f16 v18, v27, 0xbacd, -v64
	v_pk_mul_f16 v58, 0xbbf7bb29, v33
	v_pk_mul_f16 v33, 0x39643b29, v33
	v_pk_fma_f16 v97, 0xbbddb8d2, v80, v66
	v_pk_add_f16 v7, v7, v13
	v_add_f16_e32 v5, v5, v18
	v_pk_fma_f16 v18, 0x3722bacd, v27, v64
	v_pk_mul_f16 v64, 0x3b76bbdd, v89
	v_pk_fma_f16 v13, 0x2de83722, v78, v58
	v_pk_fma_f16 v33, 0x39e93722, v78, v33
	v_pk_mul_f16 v98, 0x3bb231e1, v82
	v_pk_add_f16 v7, v7, v18
	v_sub_f16_e32 v18, v64, v71
	v_pk_fma_f16 v64, 0x3b76bbdd, v89, v71
	v_pk_add_f16 v13, v79, v13
	v_pk_mul_f16 v99, 0xbbddb8d2, v80
	v_pk_add_f16 v33, v79, v33
	v_add_f16_e32 v5, v5, v18
	v_pk_add_f16 v18, v7, v64
	v_pk_mul_f16 v7, 0x2de83722, v78
	v_pk_mul_f16 v78, 0x3bf73a62, v81
	v_pk_add_f16 v13, v13, v97
	v_pk_fma_f16 v71, 0xb461bbdd, v31, v98
	v_pk_mul_f16 v97, 0x35c83bb2, v84
	v_bfi_b32 v7, 0xffff, v67, v7
	v_pk_fma_f16 v78, 0x2de8b8d2, v80, v78
	v_pk_mul_f16 v80, 0x3a62b1e1, v82
	v_pk_add_f16 v13, v13, v71
	v_pk_fma_f16 v64, 0x3b76b461, v83, v97
	v_pk_mul_f16 v71, 0xbb293964, v85
	v_pk_add_f16 v33, v33, v78
	v_pk_fma_f16 v31, 0xb8d2bbdd, v31, v80
	v_pk_mul_f16 v78, 0x31e1bbb2, v84
	v_bfi_b32 v58, 0xffff, v65, v58
	v_pk_add_f16 v13, v13, v64
	v_pk_fma_f16 v64, 0x372239e9, v29, v71
	v_pk_add_f16 v31, v33, v31
	v_pk_fma_f16 v33, 0xbbddb461, v83, v78
	v_pk_mul_f16 v78, 0xb836b964, v85
	v_pk_mul_f16 v81, 0x372239e9, v29
	v_pk_add_f16 v7, v7, v58 neg_lo:[0,1] neg_hi:[0,1]
	v_bfi_b32 v58, 0xffff, v69, v99
	v_pk_add_f16 v31, v31, v33
	v_pk_fma_f16 v29, 0xbacd39e9, v29, v78
	v_pk_mul_f16 v33, 0xbbb235c8, v87
	v_bfi_b32 v66, 0xffff, v23, v66
	v_pk_add_f16 v7, v79, v7
	v_bfi_b32 v78, 0xffff, v70, v98
	v_pk_add_f16 v29, v31, v29
	v_pk_fma_f16 v31, 0xb4613b76, v86, v33
	v_pk_mul_f16 v33, 0xbb293bf7, v88
	v_pk_add_f16 v58, v58, v66 neg_lo:[0,1] neg_hi:[0,1]
	v_bfi_b32 v66, 0xffff, v68, v100
	v_pk_mul_f16 v80, 0xb8d22de8, v27
	v_pk_fma_f16 v84, 0xb8d22de8, v27, v103
	v_pk_add_f16 v29, v29, v31
	v_pk_fma_f16 v27, 0x37222de8, v27, v33
	v_pk_mul_f16 v31, 0xb5c83836, v90
	v_pk_add_f16 v7, v7, v58
	v_pk_add_f16 v33, v66, v78 neg_lo:[0,1] neg_hi:[0,1]
	v_bfi_b32 v58, 0xffff, v22, v101
	v_bfi_b32 v66, 0xffff, v12, v97
	v_mul_f16_e32 v61, 0x3bf7, v61
	v_pk_add_f16 v13, v13, v64
	v_pk_mul_f16 v64, 0xb836b5c8, v87
	v_pk_mul_f16 v82, 0xbacd3b76, v86
	v_pk_add_f16 v27, v29, v27
	v_pk_fma_f16 v29, 0x3b76bacd, v89, v31
	v_pk_add_f16 v7, v7, v33
	v_pk_add_f16 v31, v58, v66 neg_lo:[0,1] neg_hi:[0,1]
	v_bfi_b32 v33, 0xffff, v19, v81
	v_bfi_b32 v58, 0xffff, v62, v71
	v_mul_f16_e32 v77, 0xb461, v63
	v_pk_mul_f16 v95, 0xbbdd39e9, v63 op_sel_hi:[1,0]
	v_mul_f16_e32 v63, 0x3b76, v63
	v_mul_f16_e32 v60, 0xb5c8, v60
	v_pk_add_f16 v27, v27, v29
	v_pk_add_f16 v7, v7, v31
	v_pk_add_f16 v29, v33, v58 neg_lo:[0,1] neg_hi:[0,1]
	v_bfi_b32 v31, 0xffff, v59, v82
	v_bfi_b32 v33, 0xffff, v61, v64
	v_pk_fma_f16 v102, 0xbacd3b76, v86, v64
	v_bfi_b32 v58, 0xffff, v67, v26
	v_bfi_b32 v64, 0xffff, v65, v54
	v_pk_add_f16 v7, v7, v29
	v_pk_add_f16 v29, v31, v33 neg_lo:[0,1] neg_hi:[0,1]
	v_bfi_b32 v31, 0xffff, v63, v80
	v_bfi_b32 v33, 0xffff, v60, v103
	v_pk_add_f16 v58, v58, v64
	v_bfi_b32 v64, 0xffff, v69, v91
	v_bfi_b32 v23, 0xffff, v23, v43
	v_pk_add_f16 v7, v7, v29
	v_pk_add_f16 v29, v31, v33 neg_lo:[0,1] neg_hi:[0,1]
	v_pk_add_f16 v31, v79, v58
	v_bfi_b32 v33, 0xffff, v68, v92
	v_pk_add_f16 v23, v64, v23
	v_bfi_b32 v58, 0xffff, v70, v55
	v_pk_add_f16 v7, v7, v29
	v_perm_b32 v26, v72, v26, 0x5040100
	v_perm_b32 v29, v34, v54, 0x5040100
	v_pk_add_f16 v23, v31, v23
	v_pk_add_f16 v31, v33, v58
	v_bfi_b32 v22, 0xffff, v22, v93
	v_bfi_b32 v12, 0xffff, v12, v46
	v_pk_add_f16 v26, v26, v29
	v_perm_b32 v29, v73, v91, 0x5040100
	v_perm_b32 v32, v32, v43, 0x5040100
	v_pk_add_f16 v23, v23, v31
	v_pk_add_f16 v12, v22, v12
	v_pk_add_f16 v22, v79, v26
	v_perm_b32 v30, v30, v55, 0x5040100
	v_pk_add_f16 v26, v29, v32
	v_perm_b32 v29, v74, v92, 0x5040100
	v_pk_add_f16 v12, v23, v12
	v_bfi_b32 v19, 0xffff, v19, v25
	v_bfi_b32 v23, 0xffff, v62, v45
	v_pk_add_f16 v22, v22, v26
	v_pk_add_f16 v26, v29, v30
	v_perm_b32 v29, v75, v93, 0x5040100
	v_perm_b32 v30, v41, v46, 0x5040100
	v_pk_add_f16 v19, v19, v23
	v_bfi_b32 v23, 0xffff, v59, v94
	v_bfi_b32 v31, 0xffff, v61, v40
	v_pk_add_f16 v22, v22, v26
	v_pk_add_f16 v26, v29, v30
	v_perm_b32 v25, v35, v25, 0x5040100
	v_perm_b32 v20, v20, v45, 0x5040100
	v_pk_add_f16 v12, v12, v19
	v_pk_add_f16 v19, v23, v31
	v_pk_add_f16 v22, v22, v26
	v_perm_b32 v23, v76, v94, 0x5040100
	v_pk_add_f16 v20, v25, v20
	v_perm_b32 v21, v21, v40, 0x5040100
	v_pk_mul_f16 v96, 0x3722b461, v57 op_sel_hi:[1,0]
	v_mul_f16_e32 v24, 0x2de8, v57
	v_pk_mul_f16 v78, 0x3964b836, v90
	v_pk_mul_f16 v66, 0x39e9bacd, v89
	v_mul_f16_e32 v57, 0xb8d2, v57
	v_mul_f16_e32 v56, 0xba62, v56
	v_pk_add_f16 v12, v12, v19
	v_bfi_b32 v19, 0xffff, v63, v95
	v_bfi_b32 v25, 0xffff, v60, v39
	v_pk_add_f16 v20, v22, v20
	v_pk_add_f16 v21, v23, v21
	v_perm_b32 v22, v77, v95, 0x5040100
	v_perm_b32 v23, v38, v39, 0x5040100
	v_bfi_b32 v33, 0xffff, v57, v66
	v_bfi_b32 v29, 0xffff, v56, v78
	v_pk_add_f16 v19, v19, v25
	v_bfi_b32 v25, 0xffff, v57, v96
	v_bfi_b32 v26, 0xffff, v56, v36
	v_pk_add_f16 v20, v20, v21
	v_pk_add_f16 v21, v22, v23
	v_perm_b32 v22, v24, v96, 0x5040100
	v_perm_b32 v23, v37, v36, 0x5040100
	v_pk_add_f16 v13, v13, v102
	v_pk_add_f16 v24, v33, v29 neg_lo:[0,1] neg_hi:[0,1]
	v_pk_add_f16 v12, v12, v19
	v_pk_add_f16 v25, v25, v26
	;; [unrolled: 1-line block ×3, first 2 shown]
	v_lshlrev_b32_e32 v23, 5, v0
	v_pk_add_f16 v13, v13, v84
	v_pk_fma_f16 v71, 0x39e9bacd, v89, v78
	v_pk_add_f16 v21, v20, v21
	v_pk_add_f16 v7, v7, v24
	;; [unrolled: 1-line block ×3, first 2 shown]
	v_add3_u32 v12, v53, v23, v1
	v_pk_add_f16 v19, v13, v71
	v_pk_add_f16 v21, v21, v22
	v_alignbit_b32 v24, v27, v7, 16
	v_alignbit_b32 v23, v7, v17, 16
	;; [unrolled: 1-line block ×3, first 2 shown]
	v_perm_b32 v22, v17, v28, 0x5040100
	ds_store_b16 v12, v6
	ds_store_b128 v12, v[18:21] offset:2
	ds_store_b128 v12, v[22:25] offset:18
.LBB0_18:
	s_wait_alu 0xfffe
	s_or_b32 exec_lo, exec_lo, s4
	global_wb scope:SCOPE_SE
	s_wait_dscnt 0x0
	s_barrier_signal -1
	s_barrier_wait -1
	global_inv scope:SCOPE_SE
	ds_load_u16 v5, v16
	ds_load_u16 v6, v15 offset:102
	ds_load_u16 v13, v15 offset:476
	;; [unrolled: 1-line block ×8, first 2 shown]
	s_and_saveexec_b32 s1, s0
	s_cbranch_execz .LBB0_20
; %bb.19:
	ds_load_u16 v17, v15 offset:680
	ds_load_u16 v28, v15 offset:306
	s_wait_dscnt 0x1
	ds_load_u16_d16_hi v17, v15 offset:1054
.LBB0_20:
	s_wait_alu 0xfffe
	s_or_b32 exec_lo, exec_lo, s1
	v_and_b32_e32 v22, 0xff, v0
	v_add_nc_u16 v23, v0, 51
	v_add_nc_u16 v24, v0, 0x66
	;; [unrolled: 1-line block ×3, first 2 shown]
	s_wait_dscnt 0x0
	v_lshrrev_b32_e32 v53, 16, v17
	v_mul_lo_u16 v22, 0xf1, v22
	v_and_b32_e32 v26, 0xff, v23
	v_and_b32_e32 v27, 0xff, v24
	;; [unrolled: 1-line block ×3, first 2 shown]
	v_lshrrev_b32_e32 v43, 16, v3
	v_lshrrev_b16 v22, 12, v22
	v_mul_lo_u16 v26, 0xf1, v26
	v_mul_lo_u16 v27, 0xf1, v27
	;; [unrolled: 1-line block ×3, first 2 shown]
	s_delay_alu instid0(VALU_DEP_4) | instskip(NEXT) | instid1(VALU_DEP_4)
	v_mul_lo_u16 v30, v22, 17
	v_lshrrev_b16 v26, 12, v26
	s_delay_alu instid0(VALU_DEP_4) | instskip(NEXT) | instid1(VALU_DEP_4)
	v_lshrrev_b16 v27, 12, v27
	v_lshrrev_b16 v29, 12, v29
	v_and_b32_e32 v22, 0xffff, v22
	v_sub_nc_u16 v30, v0, v30
	v_mul_lo_u16 v31, v26, 17
	v_mul_lo_u16 v32, v27, 17
	;; [unrolled: 1-line block ×3, first 2 shown]
	v_and_b32_e32 v26, 0xffff, v26
	v_and_b32_e32 v30, 0xff, v30
	v_sub_nc_u16 v23, v23, v31
	v_sub_nc_u16 v32, v24, v32
	;; [unrolled: 1-line block ×3, first 2 shown]
	v_and_b32_e32 v27, 0xffff, v27
	v_lshlrev_b32_e32 v31, 3, v30
	v_and_b32_e32 v23, 0xff, v23
	v_mad_u32_u24 v22, 0x66, v22, 0
	v_lshlrev_b32_e32 v30, 1, v30
	v_mad_u32_u24 v26, 0x66, v26, 0
	global_load_b64 v[24:25], v31, s[8:9]
	v_and_b32_e32 v31, 0xff, v32
	v_and_b32_e32 v32, 0xff, v33
	v_lshlrev_b32_e32 v33, 3, v23
	v_mad_u32_u24 v27, 0x66, v27, 0
	v_lshlrev_b32_e32 v23, 1, v23
	v_lshlrev_b32_e32 v34, 3, v31
	;; [unrolled: 1-line block ×3, first 2 shown]
	v_and_b32_e32 v29, 0xffff, v29
	s_clause 0x2
	global_load_b64 v[38:39], v33, s[8:9]
	global_load_b64 v[40:41], v34, s[8:9]
	global_load_b64 v[45:46], v35, s[8:9]
	v_lshlrev_b32_e32 v34, 1, v31
	v_add3_u32 v31, v22, v30, v1
	v_lshlrev_b32_e32 v30, 1, v32
	v_add3_u32 v33, v26, v23, v1
	global_wb scope:SCOPE_SE
	s_wait_loadcnt 0x0
	v_add3_u32 v32, v27, v34, v1
	s_barrier_signal -1
	s_barrier_wait -1
	global_inv scope:SCOPE_SE
	v_lshrrev_b32_e32 v22, 16, v24
	v_lshrrev_b32_e32 v35, 16, v25
	s_delay_alu instid0(VALU_DEP_2) | instskip(SKIP_1) | instid1(VALU_DEP_3)
	v_mul_f16_e32 v26, v21, v22
	v_mul_f16_e32 v23, v52, v22
	;; [unrolled: 1-line block ×4, first 2 shown]
	v_lshrrev_b32_e32 v34, 16, v38
	v_lshrrev_b32_e32 v35, 16, v39
	;; [unrolled: 1-line block ×4, first 2 shown]
	v_fma_f16 v26, v52, v24, -v26
	v_fmac_f16_e32 v23, v21, v24
	v_mul_f16_e32 v21, v13, v34
	v_mul_f16_e32 v24, v12, v35
	v_lshrrev_b32_e32 v55, 16, v45
	v_lshrrev_b32_e32 v56, 16, v46
	v_fma_f16 v27, v51, v25, -v27
	v_fmac_f16_e32 v22, v20, v25
	v_mul_f16_e32 v25, v48, v34
	v_mul_f16_e32 v51, v18, v37
	;; [unrolled: 1-line block ×6, first 2 shown]
	v_fma_f16 v21, v48, v38, -v21
	v_fma_f16 v24, v47, v39, -v24
	v_mul_f16_e32 v54, v17, v55
	v_mul_f16_e32 v35, v3, v55
	v_mul_f16_e32 v55, v53, v56
	v_fmac_f16_e32 v25, v13, v38
	v_fma_f16 v13, v49, v40, -v51
	v_fmac_f16_e32 v20, v18, v40
	v_fma_f16 v18, v50, v41, -v52
	v_fmac_f16_e32 v37, v19, v41
	v_add_f16_e32 v19, v26, v27
	v_fmac_f16_e32 v36, v12, v39
	v_add_f16_e32 v39, v21, v24
	v_mul_f16_e32 v34, v43, v56
	v_fmac_f16_e32 v35, v17, v45
	v_add_f16_e32 v17, v4, v26
	v_fma_f16 v12, v43, v46, -v55
	v_add_f16_e32 v43, v13, v18
	v_sub_f16_e32 v38, v23, v22
	v_fmac_f16_e32 v4, -0.5, v19
	v_add_f16_e32 v19, v42, v21
	v_sub_f16_e32 v40, v25, v36
	v_fmac_f16_e32 v42, -0.5, v39
	v_fma_f16 v3, v3, v45, -v54
	v_fmac_f16_e32 v34, v53, v46
	v_add_f16_e32 v17, v17, v27
	v_add_f16_e32 v41, v44, v13
	v_sub_f16_e32 v45, v20, v37
	v_fmac_f16_e32 v44, -0.5, v43
	v_fmamk_f16 v46, v38, 0x3aee, v4
	v_fmac_f16_e32 v4, 0xbaee, v38
	v_add_f16_e32 v19, v19, v24
	v_fmamk_f16 v39, v40, 0x3aee, v42
	v_add_f16_e32 v38, v41, v18
	v_fmac_f16_e32 v42, 0xbaee, v40
	v_fmamk_f16 v40, v45, 0x3aee, v44
	v_fmac_f16_e32 v44, 0xbaee, v45
	ds_store_b16 v31, v17
	ds_store_b16 v31, v46 offset:34
	ds_store_b16 v31, v4 offset:68
	ds_store_b16 v33, v19
	ds_store_b16 v33, v39 offset:34
	ds_store_b16 v33, v42 offset:68
	;; [unrolled: 3-line block ×3, first 2 shown]
	s_and_saveexec_b32 s1, s0
	s_cbranch_execz .LBB0_22
; %bb.21:
	v_add_f16_e32 v4, v3, v12
	v_add_f16_e32 v19, v2, v3
	v_mad_u32_u24 v38, 0x66, v29, 0
	v_sub_f16_e32 v17, v35, v34
	s_delay_alu instid0(VALU_DEP_4) | instskip(NEXT) | instid1(VALU_DEP_4)
	v_fma_f16 v2, -0.5, v4, v2
	v_add_f16_e32 v4, v19, v12
	s_delay_alu instid0(VALU_DEP_4) | instskip(NEXT) | instid1(VALU_DEP_3)
	v_add3_u32 v19, v38, v30, v1
	v_fmamk_f16 v38, v17, 0xbaee, v2
	v_fmac_f16_e32 v2, 0x3aee, v17
	ds_store_b16 v19, v4
	ds_store_b16 v19, v2 offset:34
	ds_store_b16 v19, v38 offset:68
.LBB0_22:
	s_wait_alu 0xfffe
	s_or_b32 exec_lo, exec_lo, s1
	v_add_f16_e32 v2, v23, v22
	v_add_f16_e32 v4, v5, v23
	v_sub_f16_e32 v17, v26, v27
	v_add_f16_e32 v19, v25, v36
	v_add_f16_e32 v23, v20, v37
	v_fmac_f16_e32 v5, -0.5, v2
	v_add_f16_e32 v2, v6, v25
	v_add_f16_e32 v4, v4, v22
	v_fmac_f16_e32 v6, -0.5, v19
	v_sub_f16_e32 v39, v21, v24
	v_fmamk_f16 v38, v17, 0xbaee, v5
	v_fmac_f16_e32 v5, 0x3aee, v17
	v_add_f16_e32 v40, v7, v20
	v_fmac_f16_e32 v7, -0.5, v23
	v_sub_f16_e32 v13, v13, v18
	global_wb scope:SCOPE_SE
	s_wait_dscnt 0x0
	s_barrier_signal -1
	s_barrier_wait -1
	global_inv scope:SCOPE_SE
	ds_load_u16 v17, v16
	ds_load_u16 v25, v15 offset:102
	ds_load_u16 v23, v15 offset:204
	;; [unrolled: 1-line block ×10, first 2 shown]
	v_add_f16_e32 v2, v2, v36
	v_fmamk_f16 v36, v39, 0xbaee, v6
	v_fmac_f16_e32 v6, 0x3aee, v39
	v_add_f16_e32 v37, v40, v37
	v_fmamk_f16 v39, v13, 0xbaee, v7
	v_fmac_f16_e32 v7, 0x3aee, v13
	global_wb scope:SCOPE_SE
	s_wait_dscnt 0x0
	s_barrier_signal -1
	s_barrier_wait -1
	global_inv scope:SCOPE_SE
	ds_store_b16 v31, v4
	ds_store_b16 v31, v38 offset:34
	ds_store_b16 v31, v5 offset:68
	ds_store_b16 v33, v2
	ds_store_b16 v33, v36 offset:34
	ds_store_b16 v33, v6 offset:68
	;; [unrolled: 3-line block ×3, first 2 shown]
	s_and_saveexec_b32 s1, s0
	s_cbranch_execz .LBB0_24
; %bb.23:
	v_add_f16_e32 v2, v35, v34
	v_add_f16_e32 v4, v28, v35
	v_mad_u32_u24 v5, 0x66, v29, 0
	v_sub_f16_e32 v3, v3, v12
	s_delay_alu instid0(VALU_DEP_4) | instskip(NEXT) | instid1(VALU_DEP_4)
	v_fmac_f16_e32 v28, -0.5, v2
	v_add_f16_e32 v2, v4, v34
	s_delay_alu instid0(VALU_DEP_4) | instskip(NEXT) | instid1(VALU_DEP_3)
	v_add3_u32 v1, v5, v30, v1
	v_fmamk_f16 v4, v3, 0xbaee, v28
	v_fmac_f16_e32 v28, 0x3aee, v3
	ds_store_b16 v1, v2
	ds_store_b16 v1, v4 offset:34
	ds_store_b16 v1, v28 offset:68
.LBB0_24:
	s_wait_alu 0xfffe
	s_or_b32 exec_lo, exec_lo, s1
	global_wb scope:SCOPE_SE
	s_wait_dscnt 0x0
	s_barrier_signal -1
	s_barrier_wait -1
	global_inv scope:SCOPE_SE
	s_and_saveexec_b32 s0, vcc_lo
	s_cbranch_execz .LBB0_26
; %bb.25:
	v_mul_u32_u24_e32 v0, 10, v0
	v_mad_co_u64_u32 v[30:31], null, s16, v14, 0
	v_mul_lo_u32 v28, s3, v10
	v_mul_lo_u32 v29, s2, v11
	s_delay_alu instid0(VALU_DEP_4)
	v_lshlrev_b32_e32 v4, 2, v0
	v_mad_co_u64_u32 v[10:11], null, s2, v10, 0
	v_lshlrev_b64_e32 v[32:33], 2, v[8:9]
	s_clause 0x2
	global_load_b64 v[12:13], v4, s[8:9] offset:168
	global_load_b128 v[0:3], v4, s[8:9] offset:136
	global_load_b128 v[4:7], v4, s[8:9] offset:152
	ds_load_u16 v40, v15 offset:306
	ds_load_u16 v41, v15 offset:408
	;; [unrolled: 1-line block ×7, first 2 shown]
	ds_load_u16 v16, v16
	ds_load_u16 v47, v15 offset:1020
	ds_load_u16 v48, v15 offset:918
	;; [unrolled: 1-line block ×3, first 2 shown]
	v_mov_b32_e32 v15, v31
	v_add3_u32 v11, v11, v29, v28
	s_delay_alu instid0(VALU_DEP_1) | instskip(SKIP_1) | instid1(VALU_DEP_3)
	v_lshlrev_b64_e32 v[10:11], 2, v[10:11]
	s_wait_dscnt 0x3
	v_mad_co_u64_u32 v[28:29], null, s17, v14, v[15:16]
	s_delay_alu instid0(VALU_DEP_1) | instskip(NEXT) | instid1(VALU_DEP_1)
	v_dual_mov_b32 v31, v28 :: v_dual_add_nc_u32 v38, 51, v14
	v_mad_co_u64_u32 v[8:9], null, s16, v38, 0
	s_delay_alu instid0(VALU_DEP_1)
	v_mad_co_u64_u32 v[38:39], null, s17, v38, v[9:10]
	v_add_co_u32 v9, vcc_lo, s6, v10
	s_wait_alu 0xfffd
	v_add_co_ci_u32_e32 v15, vcc_lo, s7, v11, vcc_lo
	v_lshlrev_b64_e32 v[10:11], 2, v[30:31]
	v_add_nc_u32_e32 v50, 0x66, v14
	v_add_co_u32 v28, vcc_lo, v9, v32
	v_mov_b32_e32 v9, v38
	s_wait_alu 0xfffd
	v_add_co_ci_u32_e32 v15, vcc_lo, v15, v33, vcc_lo
	v_mad_co_u64_u32 v[34:35], null, s16, v50, 0
	v_add_nc_u32_e32 v51, 0x99, v14
	v_add_co_u32 v10, vcc_lo, v28, v10
	s_wait_alu 0xfffd
	v_add_co_ci_u32_e32 v11, vcc_lo, v15, v11, vcc_lo
	s_wait_loadcnt 0x2
	v_lshrrev_b32_e32 v30, 16, v13
	s_wait_loadcnt 0x1
	v_lshrrev_b32_e32 v31, 16, v0
	v_lshrrev_b32_e32 v29, 16, v12
	;; [unrolled: 1-line block ×4, first 2 shown]
	s_wait_loadcnt 0x0
	v_lshrrev_b32_e32 v52, 16, v5
	v_lshrrev_b32_e32 v53, 16, v6
	v_mul_f16_e32 v55, v27, v30
	v_mul_f16_e32 v56, v25, v31
	;; [unrolled: 1-line block ×3, first 2 shown]
	s_wait_dscnt 0x2
	v_mul_f16_e32 v30, v47, v30
	v_lshrrev_b32_e32 v33, 16, v2
	v_lshrrev_b32_e32 v39, 16, v4
	;; [unrolled: 1-line block ×3, first 2 shown]
	v_mul_f16_e32 v57, v26, v29
	v_mul_f16_e32 v58, v23, v32
	;; [unrolled: 1-line block ×3, first 2 shown]
	s_wait_dscnt 0x1
	v_mul_f16_e32 v29, v48, v29
	v_mul_f16_e32 v61, v21, v53
	v_mul_f16_e32 v62, v20, v38
	v_mul_f16_e32 v63, v19, v52
	v_mul_f16_e32 v52, v43, v52
	v_fmac_f16_e32 v55, v47, v13
	v_fmac_f16_e32 v56, v46, v0
	v_fma_f16 v0, v25, v0, -v31
	v_fma_f16 v13, v27, v13, -v30
	v_mul_f16_e32 v59, v24, v54
	v_mul_f16_e32 v60, v22, v33
	;; [unrolled: 1-line block ×3, first 2 shown]
	s_wait_dscnt 0x0
	v_mul_f16_e32 v54, v49, v54
	v_mul_f16_e32 v38, v41, v38
	;; [unrolled: 1-line block ×5, first 2 shown]
	v_fmac_f16_e32 v57, v48, v12
	v_fmac_f16_e32 v58, v45, v1
	v_fma_f16 v1, v23, v1, -v32
	v_fma_f16 v12, v26, v12, -v29
	v_fmac_f16_e32 v61, v42, v6
	v_fmac_f16_e32 v62, v41, v3
	;; [unrolled: 1-line block ×3, first 2 shown]
	v_fma_f16 v5, v19, v5, -v52
	v_sub_f16_e32 v19, v0, v13
	v_add_f16_e32 v29, v13, v0
	v_add_f16_e32 v0, v17, v0
	v_fmac_f16_e32 v59, v49, v7
	v_fmac_f16_e32 v60, v40, v2
	v_fma_f16 v2, v22, v2, -v33
	v_fma_f16 v7, v24, v7, -v54
	;; [unrolled: 1-line block ×4, first 2 shown]
	v_fmac_f16_e32 v64, v44, v4
	v_fma_f16 v4, v18, v4, -v39
	v_add_f16_e32 v18, v55, v56
	v_add_f16_e32 v24, v61, v62
	v_sub_f16_e32 v30, v56, v55
	v_add_f16_e32 v0, v0, v1
	v_add_f16_e32 v40, v16, v56
	;; [unrolled: 1-line block ×3, first 2 shown]
	v_sub_f16_e32 v21, v1, v12
	v_add_f16_e32 v22, v59, v60
	v_sub_f16_e32 v23, v2, v7
	v_sub_f16_e32 v25, v3, v6
	v_add_f16_e32 v26, v63, v64
	v_sub_f16_e32 v27, v4, v5
	v_sub_f16_e32 v32, v58, v57
	;; [unrolled: 1-line block ×5, first 2 shown]
	v_mul_f16_e32 v44, 0xb08e, v18
	v_mul_f16_e32 v47, 0x3abb, v24
	;; [unrolled: 1-line block ×9, first 2 shown]
	v_add_f16_e32 v0, v0, v2
	v_add_f16_e32 v31, v12, v1
	;; [unrolled: 1-line block ×6, first 2 shown]
	v_mul_f16_e32 v45, 0xbbad, v20
	v_mul_f16_e32 v46, 0x36a6, v22
	;; [unrolled: 1-line block ×41, first 2 shown]
	v_fmamk_f16 v98, v19, 0x3beb, v44
	v_fmamk_f16 v101, v25, 0x3853, v47
	;; [unrolled: 1-line block ×6, first 2 shown]
	v_fmac_f16_e32 v73, 0xb482, v19
	v_fmac_f16_e32 v76, 0x3b47, v25
	;; [unrolled: 1-line block ×6, first 2 shown]
	v_fma_f16 v19, v29, 0xb08e, -v49
	v_fmamk_f16 v25, v18, 0x36a6, v81
	v_fma_f16 v122, v29, 0x36a6, -v86
	v_add_f16_e32 v0, v0, v3
	v_add_f16_e32 v1, v1, v60
	v_fmamk_f16 v99, v21, 0xb482, v45
	v_fmamk_f16 v100, v23, 0xbb47, v46
	;; [unrolled: 1-line block ×18, first 2 shown]
	v_fmac_f16_e32 v74, 0x3853, v21
	v_fmac_f16_e32 v75, 0xba0c, v23
	;; [unrolled: 1-line block ×3, first 2 shown]
	v_fma_f16 v78, v29, 0xbbad, -v78
	v_fma_f16 v79, v31, 0x3abb, -v79
	;; [unrolled: 1-line block ×3, first 2 shown]
	v_fmac_f16_e32 v65, 0x3beb, v21
	v_fmac_f16_e32 v66, 0xb853, v23
	;; [unrolled: 1-line block ×3, first 2 shown]
	v_fma_f16 v69, v29, 0xb93d, -v69
	v_fma_f16 v70, v31, 0xb08e, -v70
	;; [unrolled: 1-line block ×3, first 2 shown]
	v_fmac_f16_e32 v45, 0x3482, v21
	v_fmac_f16_e32 v46, 0x3b47, v23
	;; [unrolled: 1-line block ×3, first 2 shown]
	v_fma_f16 v21, v31, 0xbbad, -v52
	v_fma_f16 v23, v33, 0x36a6, -v53
	v_fmamk_f16 v27, v20, 0xb93d, v82
	v_fmamk_f16 v49, v22, 0xbbad, v83
	;; [unrolled: 1-line block ×4, first 2 shown]
	v_fma_f16 v123, v31, 0xb93d, -v87
	v_fma_f16 v2, v33, 0xbbad, -v88
	v_fmamk_f16 v60, v18, 0x3abb, v89
	v_fma_f16 v81, v18, 0x36a6, -v81
	v_fma_f16 v18, v18, 0x3abb, -v89
	v_fmamk_f16 v89, v20, 0x36a6, v90
	;; [unrolled: 3-line block ×5, first 2 shown]
	v_fma_f16 v85, v26, 0x3abb, -v85
	v_fma_f16 v26, v26, 0xbbad, -v93
	;; [unrolled: 1-line block ×3, first 2 shown]
	v_fmac_f16_e32 v86, 0x36a6, v29
	v_fmac_f16_e32 v30, 0x3abb, v29
	v_fma_f16 v29, v31, 0x36a6, -v32
	v_fmac_f16_e32 v87, 0xb93d, v31
	v_fmac_f16_e32 v32, 0x36a6, v31
	v_fma_f16 v31, v33, 0xb08e, -v38
	v_fmac_f16_e32 v88, 0xbbad, v33
	v_fmac_f16_e32 v38, 0xb08e, v33
	v_fmamk_f16 v33, v41, 0x36a6, v40
	v_fma_f16 v40, v41, 0x36a6, -v40
	v_fmamk_f16 v124, v41, 0xbbad, v72
	v_fma_f16 v72, v41, 0xbbad, -v72
	;; [unrolled: 2-line block ×3, first 2 shown]
	v_fma_f16 v126, v41, 0xb08e, -v58
	v_fmac_f16_e32 v58, 0xb08e, v41
	v_fma_f16 v127, v41, 0xb93d, -v39
	v_fmac_f16_e32 v39, 0xb93d, v41
	v_fmamk_f16 v41, v43, 0xb08e, v96
	v_fma_f16 v96, v43, 0xb08e, -v96
	v_fma_f16 v128, 0x36a6, v43, v95
	v_fma_f16 v95, v43, 0x36a6, -v95
	v_fma_f16 v129, 0xb93d, v43, v94
	v_fma_f16 v94, v43, 0xb93d, -v94
	v_fma_f16 v130, v43, 0x3abb, -v97
	v_fmac_f16_e32 v97, 0x3abb, v43
	v_fma_f16 v131, v43, 0xbbad, -v42
	v_fmac_f16_e32 v42, 0xbbad, v43
	v_add_f16_e32 v43, v16, v106
	v_add_f16_e32 v25, v16, v25
	v_add_f16_e32 v19, v17, v19
	v_add_f16_e32 v106, v17, v122
	v_add_f16_e32 v0, v0, v4
	v_add_f16_e32 v1, v1, v62
	v_add_f16_e32 v3, v16, v98
	v_add_f16_e32 v19, v19, v21
	v_add_f16_e32 v21, v25, v27
	v_add_f16_e32 v25, v106, v123
	v_add_f16_e32 v0, v5, v0
	v_add_f16_e32 v62, v16, v114
	v_add_f16_e32 v73, v16, v73
	v_add_f16_e32 v56, v16, v56
	v_add_f16_e32 v44, v16, v44
	v_add_f16_e32 v60, v16, v60
	v_add_f16_e32 v81, v16, v81
	v_add_f16_e32 v16, v16, v18
	v_add_f16_e32 v18, v17, v103
	v_add_f16_e32 v98, v17, v111
	v_add_f16_e32 v103, v17, v119
	v_add_f16_e32 v78, v17, v78
	v_add_f16_e32 v69, v17, v69
	v_add_f16_e32 v86, v17, v86
	v_add_f16_e32 v1, v1, v64
	v_add_f16_e32 v2, v25, v2
	v_add_f16_e32 v0, v6, v0
	v_add_f16_e32 v93, v17, v93
	v_add_f16_e32 v17, v17, v30
	v_add_f16_e32 v3, v3, v99
	v_add_f16_e32 v30, v43, v107
	v_add_f16_e32 v43, v98, v112
	v_add_f16_e32 v62, v62, v115
	v_add_f16_e32 v98, v103, v120
	v_add_f16_e32 v73, v73, v74
	v_add_f16_e32 v74, v78, v79
	v_add_f16_e32 v56, v56, v65
	v_add_f16_e32 v65, v69, v70
	v_add_f16_e32 v44, v44, v45
	v_add_f16_e32 v4, v81, v82
	v_add_f16_e32 v45, v86, v87
	v_add_f16_e32 v1, v63, v1
	v_add_f16_e32 v2, v2, v126
	v_add_f16_e32 v0, v7, v0
	v_add_f16_e32 v27, v60, v89
	v_add_f16_e32 v29, v93, v29
	v_add_f16_e32 v16, v16, v20
	v_add_f16_e32 v17, v17, v32
	v_add_f16_e32 v3, v3, v100
	v_add_f16_e32 v20, v30, v108
	v_add_f16_e32 v30, v43, v113
	v_add_f16_e32 v32, v62, v116
	v_add_f16_e32 v43, v98, v121
	v_add_f16_e32 v60, v73, v75
	v_add_f16_e32 v62, v74, v80
	v_add_f16_e32 v56, v56, v66
	v_add_f16_e32 v64, v65, v71
	v_add_f16_e32 v44, v44, v46
	v_add_f16_e32 v4, v4, v83
	v_add_f16_e32 v5, v45, v88
	v_add_f16_e32 v1, v61, v1
	v_add_f16_e32 v0, v12, v0
	v_add_f16_e64 v12, v2, v130
	v_mov_b32_e32 v2, v35
	v_mad_co_u64_u32 v[36:37], null, s16, v51, 0
	v_add_f16_e32 v19, v19, v23
	v_add_f16_e32 v23, v27, v90
	;; [unrolled: 1-line block ×16, first 2 shown]
	v_add_nc_u32_e32 v40, 0xcc, v14
	v_add_f16_e32 v1, v59, v1
	v_add_f16_e32 v6, v16, v24
	;; [unrolled: 1-line block ×4, first 2 shown]
	v_mov_b32_e32 v3, v37
	v_add_f16_e32 v24, v27, v118
	v_add_f16_e32 v27, v29, v41
	v_add_f16_e32 v29, v30, v77
	v_add_f16_e32 v30, v31, v96
	v_add_f16_e32 v31, v32, v68
	v_add_f16_e32 v32, v33, v95
	v_add_f16_e32 v33, v38, v48
	v_add_f16_e32 v38, v4, v85
	v_add_f16_e32 v39, v5, v97
	v_mad_co_u64_u32 v[4:5], null, s16, v40, 0
	v_add_f16_e32 v1, v57, v1
	v_add_f16_e32 v0, v13, v0
	v_add_f16_e32 v26, v6, v26
	v_mad_co_u64_u32 v[6:7], null, s17, v50, v[2:3]
	s_delay_alu instid0(VALU_DEP_4) | instskip(SKIP_3) | instid1(VALU_DEP_4)
	v_add_f16_e32 v1, v55, v1
	v_mad_co_u64_u32 v[2:3], null, s17, v51, v[3:4]
	v_add_f16_e32 v23, v23, v91
	v_add_f16_e32 v25, v25, v127
	v_pack_b32_f16 v13, v0, v1
	v_lshlrev_b64_e32 v[0:1], 2, v[8:9]
	v_mov_b32_e32 v3, v5
	v_add_f16_e32 v21, v21, v49
	v_add_f16_e32 v23, v23, v92
	v_add_f16_e64 v25, v25, v131
	v_mov_b32_e32 v37, v2
	global_store_b32 v[10:11], v13, off
	v_add_nc_u32_e32 v10, 0xff, v14
	v_mad_co_u64_u32 v[2:3], null, s17, v40, v[3:4]
	v_add_co_u32 v0, vcc_lo, v28, v0
	v_add_f16_e32 v21, v21, v52
	s_wait_alu 0xfffd
	v_add_co_ci_u32_e32 v1, vcc_lo, v15, v1, vcc_lo
	v_pack_b32_f16 v5, v25, v23
	v_mad_co_u64_u32 v[8:9], null, s16, v10, 0
	v_add_f16_e32 v21, v21, v53
	v_mov_b32_e32 v35, v6
	global_store_b32 v[0:1], v5, off
	v_mov_b32_e32 v5, v2
	v_lshlrev_b64_e32 v[6:7], 2, v[36:37]
	v_pack_b32_f16 v11, v12, v21
	v_add_nc_u32_e32 v12, 0x198, v14
	v_add_f16_e32 v19, v19, v54
	v_lshlrev_b64_e32 v[2:3], 2, v[4:5]
	v_mov_b32_e32 v4, v9
	v_lshlrev_b64_e32 v[0:1], 2, v[34:35]
	v_pack_b32_f16 v13, v30, v29
	v_add_f16_e32 v19, v19, v94
	v_add_f16_e32 v18, v18, v104
	;; [unrolled: 1-line block ×3, first 2 shown]
	v_add_f16_e64 v22, v22, v128
	v_add_co_u32 v0, vcc_lo, v28, v0
	s_wait_alu 0xfffd
	v_add_co_ci_u32_e32 v1, vcc_lo, v15, v1, vcc_lo
	v_add_co_u32 v5, vcc_lo, v28, v6
	s_wait_alu 0xfffd
	v_add_co_ci_u32_e32 v6, vcc_lo, v15, v7, vcc_lo
	v_add_co_u32 v2, vcc_lo, v28, v2
	s_delay_alu instid0(VALU_DEP_3)
	v_mad_co_u64_u32 v[9:10], null, s17, v10, v[4:5]
	v_pack_b32_f16 v4, v19, v33
	s_wait_alu 0xfffd
	v_add_co_ci_u32_e32 v3, vcc_lo, v15, v3, vcc_lo
	v_pack_b32_f16 v7, v32, v31
	s_clause 0x1
	global_store_b32 v[0:1], v11, off
	global_store_b32 v[5:6], v4, off
	v_add_nc_u32_e32 v10, 0x132, v14
	v_add_nc_u32_e32 v11, 0x165, v14
	v_lshlrev_b64_e32 v[0:1], 2, v[8:9]
	global_store_b32 v[2:3], v7, off
	v_mad_co_u64_u32 v[6:7], null, s16, v12, 0
	v_mad_co_u64_u32 v[2:3], null, s16, v10, 0
	;; [unrolled: 1-line block ×3, first 2 shown]
	v_add_nc_u32_e32 v19, 0x1cb, v14
	v_add_co_u32 v0, vcc_lo, v28, v0
	s_wait_alu 0xfffd
	v_add_co_ci_u32_e32 v1, vcc_lo, v15, v1, vcc_lo
	v_add_f16_e32 v18, v18, v105
	v_mad_co_u64_u32 v[8:9], null, s17, v10, v[3:4]
	v_mad_co_u64_u32 v[9:10], null, s17, v11, v[5:6]
	v_mov_b32_e32 v5, v7
	v_mad_co_u64_u32 v[10:11], null, s16, v19, 0
	global_store_b32 v[0:1], v13, off
	v_mov_b32_e32 v3, v8
	v_mad_co_u64_u32 v[7:8], null, s17, v12, v[5:6]
	v_dual_mov_b32 v5, v9 :: v_dual_add_nc_u32 v12, 0x1fe, v14
	s_delay_alu instid0(VALU_DEP_3) | instskip(SKIP_2) | instid1(VALU_DEP_4)
	v_lshlrev_b64_e32 v[0:1], 2, v[2:3]
	v_mov_b32_e32 v2, v11
	v_add_f16_e32 v18, v18, v125
	v_mad_co_u64_u32 v[8:9], null, s16, v12, 0
	v_lshlrev_b64_e32 v[4:5], 2, v[4:5]
	s_delay_alu instid0(VALU_DEP_4)
	v_mad_co_u64_u32 v[2:3], null, s17, v19, v[2:3]
	v_add_co_u32 v0, vcc_lo, v28, v0
	s_wait_alu 0xfffd
	v_add_co_ci_u32_e32 v1, vcc_lo, v15, v1, vcc_lo
	v_mov_b32_e32 v3, v9
	v_lshlrev_b64_e32 v[6:7], 2, v[6:7]
	v_mov_b32_e32 v11, v2
	v_add_co_u32 v2, vcc_lo, v28, v4
	s_delay_alu instid0(VALU_DEP_4)
	v_mad_co_u64_u32 v[12:13], null, s17, v12, v[3:4]
	s_wait_alu 0xfffd
	v_add_co_ci_u32_e32 v3, vcc_lo, v15, v5, vcc_lo
	v_lshlrev_b64_e32 v[4:5], 2, v[10:11]
	v_add_f16_e32 v20, v20, v110
	v_add_co_u32 v6, vcc_lo, v28, v6
	v_mov_b32_e32 v9, v12
	v_add_f16_e64 v18, v18, v129
	s_wait_alu 0xfffd
	v_add_co_ci_u32_e32 v7, vcc_lo, v15, v7, vcc_lo
	v_add_f16_e32 v16, v16, v42
	v_lshlrev_b64_e32 v[8:9], 2, v[8:9]
	v_add_co_u32 v4, vcc_lo, v28, v4
	v_pack_b32_f16 v14, v27, v24
	v_pack_b32_f16 v13, v22, v20
	s_wait_alu 0xfffd
	v_add_co_ci_u32_e32 v5, vcc_lo, v15, v5, vcc_lo
	v_pack_b32_f16 v10, v18, v17
	v_add_co_u32 v8, vcc_lo, v28, v8
	v_pack_b32_f16 v11, v39, v38
	s_wait_alu 0xfffd
	v_add_co_ci_u32_e32 v9, vcc_lo, v15, v9, vcc_lo
	v_pack_b32_f16 v12, v16, v26
	s_clause 0x4
	global_store_b32 v[0:1], v14, off
	global_store_b32 v[2:3], v13, off
	;; [unrolled: 1-line block ×5, first 2 shown]
.LBB0_26:
	s_nop 0
	s_sendmsg sendmsg(MSG_DEALLOC_VGPRS)
	s_endpgm
	.section	.rodata,"a",@progbits
	.p2align	6, 0x0
	.amdhsa_kernel fft_rtc_fwd_len561_factors_17_3_11_wgs_255_tpt_51_halfLds_half_op_CI_CI_sbrr_dirReg
		.amdhsa_group_segment_fixed_size 0
		.amdhsa_private_segment_fixed_size 0
		.amdhsa_kernarg_size 104
		.amdhsa_user_sgpr_count 2
		.amdhsa_user_sgpr_dispatch_ptr 0
		.amdhsa_user_sgpr_queue_ptr 0
		.amdhsa_user_sgpr_kernarg_segment_ptr 1
		.amdhsa_user_sgpr_dispatch_id 0
		.amdhsa_user_sgpr_private_segment_size 0
		.amdhsa_wavefront_size32 1
		.amdhsa_uses_dynamic_stack 0
		.amdhsa_enable_private_segment 0
		.amdhsa_system_sgpr_workgroup_id_x 1
		.amdhsa_system_sgpr_workgroup_id_y 0
		.amdhsa_system_sgpr_workgroup_id_z 0
		.amdhsa_system_sgpr_workgroup_info 0
		.amdhsa_system_vgpr_workitem_id 0
		.amdhsa_next_free_vgpr 132
		.amdhsa_next_free_sgpr 43
		.amdhsa_reserve_vcc 1
		.amdhsa_float_round_mode_32 0
		.amdhsa_float_round_mode_16_64 0
		.amdhsa_float_denorm_mode_32 3
		.amdhsa_float_denorm_mode_16_64 3
		.amdhsa_fp16_overflow 0
		.amdhsa_workgroup_processor_mode 1
		.amdhsa_memory_ordered 1
		.amdhsa_forward_progress 0
		.amdhsa_round_robin_scheduling 0
		.amdhsa_exception_fp_ieee_invalid_op 0
		.amdhsa_exception_fp_denorm_src 0
		.amdhsa_exception_fp_ieee_div_zero 0
		.amdhsa_exception_fp_ieee_overflow 0
		.amdhsa_exception_fp_ieee_underflow 0
		.amdhsa_exception_fp_ieee_inexact 0
		.amdhsa_exception_int_div_zero 0
	.end_amdhsa_kernel
	.text
.Lfunc_end0:
	.size	fft_rtc_fwd_len561_factors_17_3_11_wgs_255_tpt_51_halfLds_half_op_CI_CI_sbrr_dirReg, .Lfunc_end0-fft_rtc_fwd_len561_factors_17_3_11_wgs_255_tpt_51_halfLds_half_op_CI_CI_sbrr_dirReg
                                        ; -- End function
	.section	.AMDGPU.csdata,"",@progbits
; Kernel info:
; codeLenInByte = 13940
; NumSgprs: 45
; NumVgprs: 132
; ScratchSize: 0
; MemoryBound: 0
; FloatMode: 240
; IeeeMode: 1
; LDSByteSize: 0 bytes/workgroup (compile time only)
; SGPRBlocks: 5
; VGPRBlocks: 16
; NumSGPRsForWavesPerEU: 45
; NumVGPRsForWavesPerEU: 132
; Occupancy: 10
; WaveLimiterHint : 1
; COMPUTE_PGM_RSRC2:SCRATCH_EN: 0
; COMPUTE_PGM_RSRC2:USER_SGPR: 2
; COMPUTE_PGM_RSRC2:TRAP_HANDLER: 0
; COMPUTE_PGM_RSRC2:TGID_X_EN: 1
; COMPUTE_PGM_RSRC2:TGID_Y_EN: 0
; COMPUTE_PGM_RSRC2:TGID_Z_EN: 0
; COMPUTE_PGM_RSRC2:TIDIG_COMP_CNT: 0
	.text
	.p2alignl 7, 3214868480
	.fill 96, 4, 3214868480
	.type	__hip_cuid_bc089a4bbce68ccf,@object ; @__hip_cuid_bc089a4bbce68ccf
	.section	.bss,"aw",@nobits
	.globl	__hip_cuid_bc089a4bbce68ccf
__hip_cuid_bc089a4bbce68ccf:
	.byte	0                               ; 0x0
	.size	__hip_cuid_bc089a4bbce68ccf, 1

	.ident	"AMD clang version 19.0.0git (https://github.com/RadeonOpenCompute/llvm-project roc-6.4.0 25133 c7fe45cf4b819c5991fe208aaa96edf142730f1d)"
	.section	".note.GNU-stack","",@progbits
	.addrsig
	.addrsig_sym __hip_cuid_bc089a4bbce68ccf
	.amdgpu_metadata
---
amdhsa.kernels:
  - .args:
      - .actual_access:  read_only
        .address_space:  global
        .offset:         0
        .size:           8
        .value_kind:     global_buffer
      - .offset:         8
        .size:           8
        .value_kind:     by_value
      - .actual_access:  read_only
        .address_space:  global
        .offset:         16
        .size:           8
        .value_kind:     global_buffer
      - .actual_access:  read_only
        .address_space:  global
        .offset:         24
        .size:           8
        .value_kind:     global_buffer
      - .actual_access:  read_only
        .address_space:  global
        .offset:         32
        .size:           8
        .value_kind:     global_buffer
      - .offset:         40
        .size:           8
        .value_kind:     by_value
      - .actual_access:  read_only
        .address_space:  global
        .offset:         48
        .size:           8
        .value_kind:     global_buffer
      - .actual_access:  read_only
        .address_space:  global
        .offset:         56
        .size:           8
        .value_kind:     global_buffer
      - .offset:         64
        .size:           4
        .value_kind:     by_value
      - .actual_access:  read_only
        .address_space:  global
        .offset:         72
        .size:           8
        .value_kind:     global_buffer
      - .actual_access:  read_only
        .address_space:  global
        .offset:         80
        .size:           8
        .value_kind:     global_buffer
      - .actual_access:  read_only
        .address_space:  global
        .offset:         88
        .size:           8
        .value_kind:     global_buffer
      - .actual_access:  write_only
        .address_space:  global
        .offset:         96
        .size:           8
        .value_kind:     global_buffer
    .group_segment_fixed_size: 0
    .kernarg_segment_align: 8
    .kernarg_segment_size: 104
    .language:       OpenCL C
    .language_version:
      - 2
      - 0
    .max_flat_workgroup_size: 255
    .name:           fft_rtc_fwd_len561_factors_17_3_11_wgs_255_tpt_51_halfLds_half_op_CI_CI_sbrr_dirReg
    .private_segment_fixed_size: 0
    .sgpr_count:     45
    .sgpr_spill_count: 0
    .symbol:         fft_rtc_fwd_len561_factors_17_3_11_wgs_255_tpt_51_halfLds_half_op_CI_CI_sbrr_dirReg.kd
    .uniform_work_group_size: 1
    .uses_dynamic_stack: false
    .vgpr_count:     132
    .vgpr_spill_count: 0
    .wavefront_size: 32
    .workgroup_processor_mode: 1
amdhsa.target:   amdgcn-amd-amdhsa--gfx1201
amdhsa.version:
  - 1
  - 2
...

	.end_amdgpu_metadata
